;; amdgpu-corpus repo=ROCm/rocFFT kind=compiled arch=gfx906 opt=O3
	.text
	.amdgcn_target "amdgcn-amd-amdhsa--gfx906"
	.amdhsa_code_object_version 6
	.protected	fft_rtc_back_len1960_factors_4_7_2_7_5_wgs_56_tpt_56_halfLds_dp_ip_CI_sbrr_dirReg ; -- Begin function fft_rtc_back_len1960_factors_4_7_2_7_5_wgs_56_tpt_56_halfLds_dp_ip_CI_sbrr_dirReg
	.globl	fft_rtc_back_len1960_factors_4_7_2_7_5_wgs_56_tpt_56_halfLds_dp_ip_CI_sbrr_dirReg
	.p2align	8
	.type	fft_rtc_back_len1960_factors_4_7_2_7_5_wgs_56_tpt_56_halfLds_dp_ip_CI_sbrr_dirReg,@function
fft_rtc_back_len1960_factors_4_7_2_7_5_wgs_56_tpt_56_halfLds_dp_ip_CI_sbrr_dirReg: ; @fft_rtc_back_len1960_factors_4_7_2_7_5_wgs_56_tpt_56_halfLds_dp_ip_CI_sbrr_dirReg
; %bb.0:
	s_mov_b64 s[38:39], s[2:3]
	s_mov_b64 s[36:37], s[0:1]
	s_load_dwordx2 s[2:3], s[4:5], 0x18
	s_load_dwordx4 s[8:11], s[4:5], 0x0
	s_load_dwordx2 s[14:15], s[4:5], 0x50
	v_mul_u32_u24_e32 v1, 0x493, v0
	s_add_u32 s36, s36, s7
	s_waitcnt lgkmcnt(0)
	s_load_dwordx2 s[12:13], s[2:3], 0x0
	v_cmp_lt_u64_e64 s[0:1], s[10:11], 2
	v_add_u32_sdwa v5, s6, v1 dst_sel:DWORD dst_unused:UNUSED_PAD src0_sel:DWORD src1_sel:WORD_1
	v_mov_b32_e32 v3, 0
	v_mov_b32_e32 v1, 0
	s_addc_u32 s37, s37, 0
	v_mov_b32_e32 v6, v3
	s_and_b64 vcc, exec, s[0:1]
	v_mov_b32_e32 v2, 0
	s_cbranch_vccnz .LBB0_8
; %bb.1:
	s_load_dwordx2 s[0:1], s[4:5], 0x10
	s_add_u32 s6, s2, 8
	s_addc_u32 s7, s3, 0
	v_mov_b32_e32 v1, 0
	v_mov_b32_e32 v2, 0
	s_waitcnt lgkmcnt(0)
	s_add_u32 s16, s0, 8
	s_addc_u32 s17, s1, 0
	s_mov_b64 s[18:19], 1
.LBB0_2:                                ; =>This Inner Loop Header: Depth=1
	s_load_dwordx2 s[20:21], s[16:17], 0x0
                                        ; implicit-def: $vgpr7_vgpr8
	s_waitcnt lgkmcnt(0)
	v_or_b32_e32 v4, s21, v6
	v_cmp_ne_u64_e32 vcc, 0, v[3:4]
	s_and_saveexec_b64 s[0:1], vcc
	s_xor_b64 s[22:23], exec, s[0:1]
	s_cbranch_execz .LBB0_4
; %bb.3:                                ;   in Loop: Header=BB0_2 Depth=1
	v_cvt_f32_u32_e32 v4, s20
	v_cvt_f32_u32_e32 v7, s21
	s_sub_u32 s0, 0, s20
	s_subb_u32 s1, 0, s21
	v_mac_f32_e32 v4, 0x4f800000, v7
	v_rcp_f32_e32 v4, v4
	v_mul_f32_e32 v4, 0x5f7ffffc, v4
	v_mul_f32_e32 v7, 0x2f800000, v4
	v_trunc_f32_e32 v7, v7
	v_mac_f32_e32 v4, 0xcf800000, v7
	v_cvt_u32_f32_e32 v7, v7
	v_cvt_u32_f32_e32 v4, v4
	v_mul_lo_u32 v8, s0, v7
	v_mul_hi_u32 v9, s0, v4
	v_mul_lo_u32 v11, s1, v4
	v_mul_lo_u32 v10, s0, v4
	v_add_u32_e32 v8, v9, v8
	v_add_u32_e32 v8, v8, v11
	v_mul_hi_u32 v9, v4, v10
	v_mul_lo_u32 v11, v4, v8
	v_mul_hi_u32 v13, v4, v8
	v_mul_hi_u32 v12, v7, v10
	v_mul_lo_u32 v10, v7, v10
	v_mul_hi_u32 v14, v7, v8
	v_add_co_u32_e32 v9, vcc, v9, v11
	v_addc_co_u32_e32 v11, vcc, 0, v13, vcc
	v_mul_lo_u32 v8, v7, v8
	v_add_co_u32_e32 v9, vcc, v9, v10
	v_addc_co_u32_e32 v9, vcc, v11, v12, vcc
	v_addc_co_u32_e32 v10, vcc, 0, v14, vcc
	v_add_co_u32_e32 v8, vcc, v9, v8
	v_addc_co_u32_e32 v9, vcc, 0, v10, vcc
	v_add_co_u32_e32 v4, vcc, v4, v8
	v_addc_co_u32_e32 v7, vcc, v7, v9, vcc
	v_mul_lo_u32 v8, s0, v7
	v_mul_hi_u32 v9, s0, v4
	v_mul_lo_u32 v10, s1, v4
	v_mul_lo_u32 v11, s0, v4
	v_add_u32_e32 v8, v9, v8
	v_add_u32_e32 v8, v8, v10
	v_mul_lo_u32 v12, v4, v8
	v_mul_hi_u32 v13, v4, v11
	v_mul_hi_u32 v14, v4, v8
	;; [unrolled: 1-line block ×3, first 2 shown]
	v_mul_lo_u32 v11, v7, v11
	v_mul_hi_u32 v9, v7, v8
	v_add_co_u32_e32 v12, vcc, v13, v12
	v_addc_co_u32_e32 v13, vcc, 0, v14, vcc
	v_mul_lo_u32 v8, v7, v8
	v_add_co_u32_e32 v11, vcc, v12, v11
	v_addc_co_u32_e32 v10, vcc, v13, v10, vcc
	v_addc_co_u32_e32 v9, vcc, 0, v9, vcc
	v_add_co_u32_e32 v8, vcc, v10, v8
	v_addc_co_u32_e32 v9, vcc, 0, v9, vcc
	v_add_co_u32_e32 v4, vcc, v4, v8
	v_addc_co_u32_e32 v9, vcc, v7, v9, vcc
	v_mad_u64_u32 v[7:8], s[0:1], v5, v9, 0
	v_mul_hi_u32 v10, v5, v4
	v_add_co_u32_e32 v11, vcc, v10, v7
	v_addc_co_u32_e32 v12, vcc, 0, v8, vcc
	v_mad_u64_u32 v[7:8], s[0:1], v6, v4, 0
	v_mad_u64_u32 v[9:10], s[0:1], v6, v9, 0
	v_add_co_u32_e32 v4, vcc, v11, v7
	v_addc_co_u32_e32 v4, vcc, v12, v8, vcc
	v_addc_co_u32_e32 v7, vcc, 0, v10, vcc
	v_add_co_u32_e32 v4, vcc, v4, v9
	v_addc_co_u32_e32 v9, vcc, 0, v7, vcc
	v_mul_lo_u32 v10, s21, v4
	v_mul_lo_u32 v11, s20, v9
	v_mad_u64_u32 v[7:8], s[0:1], s20, v4, 0
	v_add3_u32 v8, v8, v11, v10
	v_sub_u32_e32 v10, v6, v8
	v_mov_b32_e32 v11, s21
	v_sub_co_u32_e32 v7, vcc, v5, v7
	v_subb_co_u32_e64 v10, s[0:1], v10, v11, vcc
	v_subrev_co_u32_e64 v11, s[0:1], s20, v7
	v_subbrev_co_u32_e64 v10, s[0:1], 0, v10, s[0:1]
	v_cmp_le_u32_e64 s[0:1], s21, v10
	v_cndmask_b32_e64 v12, 0, -1, s[0:1]
	v_cmp_le_u32_e64 s[0:1], s20, v11
	v_cndmask_b32_e64 v11, 0, -1, s[0:1]
	v_cmp_eq_u32_e64 s[0:1], s21, v10
	v_cndmask_b32_e64 v10, v12, v11, s[0:1]
	v_add_co_u32_e64 v11, s[0:1], 2, v4
	v_addc_co_u32_e64 v12, s[0:1], 0, v9, s[0:1]
	v_add_co_u32_e64 v13, s[0:1], 1, v4
	v_addc_co_u32_e64 v14, s[0:1], 0, v9, s[0:1]
	v_subb_co_u32_e32 v8, vcc, v6, v8, vcc
	v_cmp_ne_u32_e64 s[0:1], 0, v10
	v_cmp_le_u32_e32 vcc, s21, v8
	v_cndmask_b32_e64 v10, v14, v12, s[0:1]
	v_cndmask_b32_e64 v12, 0, -1, vcc
	v_cmp_le_u32_e32 vcc, s20, v7
	v_cndmask_b32_e64 v7, 0, -1, vcc
	v_cmp_eq_u32_e32 vcc, s21, v8
	v_cndmask_b32_e32 v7, v12, v7, vcc
	v_cmp_ne_u32_e32 vcc, 0, v7
	v_cndmask_b32_e64 v7, v13, v11, s[0:1]
	v_cndmask_b32_e32 v8, v9, v10, vcc
	v_cndmask_b32_e32 v7, v4, v7, vcc
.LBB0_4:                                ;   in Loop: Header=BB0_2 Depth=1
	s_andn2_saveexec_b64 s[0:1], s[22:23]
	s_cbranch_execz .LBB0_6
; %bb.5:                                ;   in Loop: Header=BB0_2 Depth=1
	v_cvt_f32_u32_e32 v4, s20
	s_sub_i32 s22, 0, s20
	v_rcp_iflag_f32_e32 v4, v4
	v_mul_f32_e32 v4, 0x4f7ffffe, v4
	v_cvt_u32_f32_e32 v4, v4
	v_mul_lo_u32 v7, s22, v4
	v_mul_hi_u32 v7, v4, v7
	v_add_u32_e32 v4, v4, v7
	v_mul_hi_u32 v4, v5, v4
	v_mul_lo_u32 v7, v4, s20
	v_add_u32_e32 v8, 1, v4
	v_sub_u32_e32 v7, v5, v7
	v_subrev_u32_e32 v9, s20, v7
	v_cmp_le_u32_e32 vcc, s20, v7
	v_cndmask_b32_e32 v7, v7, v9, vcc
	v_cndmask_b32_e32 v4, v4, v8, vcc
	v_add_u32_e32 v8, 1, v4
	v_cmp_le_u32_e32 vcc, s20, v7
	v_cndmask_b32_e32 v7, v4, v8, vcc
	v_mov_b32_e32 v8, v3
.LBB0_6:                                ;   in Loop: Header=BB0_2 Depth=1
	s_or_b64 exec, exec, s[0:1]
	v_mul_lo_u32 v4, v8, s20
	v_mul_lo_u32 v11, v7, s21
	v_mad_u64_u32 v[9:10], s[0:1], v7, s20, 0
	s_load_dwordx2 s[0:1], s[6:7], 0x0
	s_add_u32 s18, s18, 1
	v_add3_u32 v4, v10, v11, v4
	v_sub_co_u32_e32 v5, vcc, v5, v9
	v_subb_co_u32_e32 v4, vcc, v6, v4, vcc
	s_waitcnt lgkmcnt(0)
	v_mul_lo_u32 v4, s0, v4
	v_mul_lo_u32 v6, s1, v5
	v_mad_u64_u32 v[1:2], s[0:1], s0, v5, v[1:2]
	s_addc_u32 s19, s19, 0
	s_add_u32 s6, s6, 8
	v_add3_u32 v2, v6, v2, v4
	v_mov_b32_e32 v4, s10
	v_mov_b32_e32 v5, s11
	s_addc_u32 s7, s7, 0
	v_cmp_ge_u64_e32 vcc, s[18:19], v[4:5]
	s_add_u32 s16, s16, 8
	s_addc_u32 s17, s17, 0
	s_cbranch_vccnz .LBB0_9
; %bb.7:                                ;   in Loop: Header=BB0_2 Depth=1
	v_mov_b32_e32 v5, v7
	v_mov_b32_e32 v6, v8
	s_branch .LBB0_2
.LBB0_8:
	v_mov_b32_e32 v8, v6
	v_mov_b32_e32 v7, v5
.LBB0_9:
	s_lshl_b64 s[0:1], s[10:11], 3
	s_add_u32 s0, s2, s0
	s_addc_u32 s1, s3, s1
	s_load_dwordx2 s[2:3], s[0:1], 0x0
	s_load_dwordx2 s[6:7], s[4:5], 0x20
                                        ; implicit-def: $vgpr222
                                        ; implicit-def: $vgpr211
                                        ; implicit-def: $vgpr218
                                        ; implicit-def: $vgpr219
                                        ; implicit-def: $vgpr220
                                        ; implicit-def: $vgpr221
                                        ; implicit-def: $vgpr235
                                        ; implicit-def: $vgpr176
	s_waitcnt lgkmcnt(0)
	v_mad_u64_u32 v[1:2], s[0:1], s2, v7, v[1:2]
	s_mov_b32 s0, 0x4924925
	v_mul_lo_u32 v3, s2, v8
	v_mul_lo_u32 v4, s3, v7
	v_mul_hi_u32 v5, v0, s0
	v_cmp_gt_u64_e32 vcc, s[6:7], v[7:8]
	v_cmp_le_u64_e64 s[0:1], s[6:7], v[7:8]
	v_add3_u32 v2, v4, v2, v3
	v_mul_u32_u24_e32 v3, 56, v5
	v_sub_u32_e32 v177, v0, v3
	v_add_u32_e32 v0, 56, v177
	buffer_store_dword v0, off, s[36:39], 0 offset:208 ; 4-byte Folded Spill
	s_and_saveexec_b64 s[2:3], s[0:1]
	s_xor_b64 s[0:1], exec, s[2:3]
; %bb.10:
	v_add_u32_e32 v222, 56, v177
	v_add_u32_e32 v211, 0x70, v177
	;; [unrolled: 1-line block ×7, first 2 shown]
	v_or_b32_e32 v176, 0x1c0, v177
; %bb.11:
	s_or_saveexec_b64 s[2:3], s[0:1]
	v_lshlrev_b64 v[0:1], 4, v[1:2]
                                        ; implicit-def: $vgpr84_vgpr85
                                        ; implicit-def: $vgpr104_vgpr105
                                        ; implicit-def: $vgpr60_vgpr61
                                        ; implicit-def: $vgpr100_vgpr101
                                        ; implicit-def: $vgpr68_vgpr69
                                        ; implicit-def: $vgpr76_vgpr77
                                        ; implicit-def: $vgpr72_vgpr73
                                        ; implicit-def: $vgpr92_vgpr93
                                        ; implicit-def: $vgpr44_vgpr45
                                        ; implicit-def: $vgpr64_vgpr65
                                        ; implicit-def: $vgpr4_vgpr5
                                        ; implicit-def: $vgpr48_vgpr49
                                        ; implicit-def: $vgpr16_vgpr17
                                        ; implicit-def: $vgpr40_vgpr41
                                        ; implicit-def: $vgpr20_vgpr21
                                        ; implicit-def: $vgpr36_vgpr37
                                        ; implicit-def: $vgpr12_vgpr13
                                        ; implicit-def: $vgpr108_vgpr109
                                        ; implicit-def: $vgpr128_vgpr129
                                        ; implicit-def: $vgpr8_vgpr9
                                        ; implicit-def: $vgpr112_vgpr113
                                        ; implicit-def: $vgpr32_vgpr33
                                        ; implicit-def: $vgpr120_vgpr121
                                        ; implicit-def: $vgpr28_vgpr29
                                        ; implicit-def: $vgpr116_vgpr117
                                        ; implicit-def: $vgpr24_vgpr25
                                        ; implicit-def: $vgpr124_vgpr125
                                        ; implicit-def: $vgpr80_vgpr81
                                        ; implicit-def: $vgpr132_vgpr133
                                        ; implicit-def: $vgpr52_vgpr53
                                        ; implicit-def: $vgpr136_vgpr137
                                        ; implicit-def: $vgpr56_vgpr57
                                        ; implicit-def: $vgpr140_vgpr141
                                        ; implicit-def: $vgpr96_vgpr97
                                        ; implicit-def: $vgpr144_vgpr145
                                        ; implicit-def: $vgpr88_vgpr89
	buffer_store_dword v0, off, s[36:39], 0 offset:44 ; 4-byte Folded Spill
	s_nop 0
	buffer_store_dword v1, off, s[36:39], 0 offset:48 ; 4-byte Folded Spill
	s_xor_b64 exec, exec, s[2:3]
	s_cbranch_execz .LBB0_15
; %bb.12:
	buffer_load_dword v6, off, s[36:39], 0 offset:44 ; 4-byte Folded Reload
	buffer_load_dword v7, off, s[36:39], 0 offset:48 ; 4-byte Folded Reload
	v_mad_u64_u32 v[0:1], s[0:1], s12, v177, 0
	v_add_u32_e32 v5, 0x1ea, v177
	v_mov_b32_e32 v4, s15
	v_mad_u64_u32 v[1:2], s[0:1], s13, v177, v[1:2]
	v_mad_u64_u32 v[2:3], s[0:1], s12, v5, 0
	v_lshlrev_b64 v[0:1], 4, v[0:1]
	v_add_u32_e32 v8, 0x5be, v177
	v_add_u32_e32 v10, 56, v177
	v_add_u32_e32 v12, 0x222, v177
	v_add_u32_e32 v14, 0x40c, v177
	v_add_u32_e32 v16, 0x5f6, v177
	v_add_u32_e32 v211, 0x70, v177
	v_add_u32_e32 v20, 0x25a, v177
	v_add_u32_e32 v22, 0x444, v177
	v_add_u32_e32 v24, 0x62e, v177
	v_add_u32_e32 v218, 0xa8, v177
	v_add_u32_e32 v28, 0x292, v177
	v_add_u32_e32 v30, 0x47c, v177
	v_add_u32_e32 v32, 0x666, v177
	v_add_u32_e32 v219, 0xe0, v177
	v_add_u32_e32 v36, 0x2ca, v177
	v_add_u32_e32 v38, 0x4b4, v177
	v_add_u32_e32 v40, 0x69e, v177
	v_add_u32_e32 v220, 0x118, v177
	v_add_u32_e32 v44, 0x302, v177
	v_add_u32_e32 v46, 0x4ec, v177
	v_add_u32_e32 v50, 0x6d6, v177
	v_add_u32_e32 v221, 0x150, v177
	v_add_u32_e32 v235, 0x188, v177
	v_or_b32_e32 v176, 0x1c0, v177
	s_waitcnt vmcnt(1)
	v_add_co_u32_e64 v108, s[0:1], s14, v6
	s_waitcnt vmcnt(0)
	v_addc_co_u32_e64 v109, s[0:1], v4, v7, s[0:1]
	v_mad_u64_u32 v[3:4], s[0:1], s13, v5, v[3:4]
	v_add_u32_e32 v6, 0x3d4, v177
	v_mad_u64_u32 v[4:5], s[0:1], s12, v6, 0
	v_add_co_u32_e64 v0, s[0:1], v108, v0
	v_addc_co_u32_e64 v1, s[0:1], v109, v1, s[0:1]
	v_mad_u64_u32 v[5:6], s[0:1], s13, v6, v[5:6]
	v_mad_u64_u32 v[6:7], s[0:1], s12, v8, 0
	v_lshlrev_b64 v[2:3], 4, v[2:3]
	v_lshlrev_b64 v[4:5], 4, v[4:5]
	v_add_co_u32_e64 v2, s[0:1], v108, v2
	v_addc_co_u32_e64 v3, s[0:1], v109, v3, s[0:1]
	v_mad_u64_u32 v[7:8], s[0:1], s13, v8, v[7:8]
	v_mad_u64_u32 v[8:9], s[0:1], s12, v10, 0
	v_add_co_u32_e64 v4, s[0:1], v108, v4
	v_addc_co_u32_e64 v5, s[0:1], v109, v5, s[0:1]
	v_mad_u64_u32 v[9:10], s[0:1], s13, v10, v[9:10]
	v_mad_u64_u32 v[10:11], s[0:1], s12, v12, 0
	v_lshlrev_b64 v[6:7], 4, v[6:7]
	v_lshlrev_b64 v[8:9], 4, v[8:9]
	v_add_co_u32_e64 v6, s[0:1], v108, v6
	v_addc_co_u32_e64 v7, s[0:1], v109, v7, s[0:1]
	v_mad_u64_u32 v[11:12], s[0:1], s13, v12, v[11:12]
	;; [unrolled: 10-line block ×10, first 2 shown]
	v_mad_u64_u32 v[44:45], s[0:1], s12, v46, 0
	v_add_co_u32_e64 v40, s[0:1], v108, v40
	v_addc_co_u32_e64 v41, s[0:1], v109, v41, s[0:1]
	v_mad_u64_u32 v[45:46], s[0:1], s13, v46, v[45:46]
	v_mad_u64_u32 v[46:47], s[0:1], s12, v50, 0
	v_lshlrev_b64 v[42:43], 4, v[42:43]
	v_add_co_u32_e64 v48, s[0:1], v108, v42
	v_addc_co_u32_e64 v49, s[0:1], v109, v43, s[0:1]
	v_lshlrev_b64 v[42:43], 4, v[44:45]
	v_mov_b32_e32 v44, v47
	v_mad_u64_u32 v[44:45], s[0:1], s13, v50, v[44:45]
	v_mad_u64_u32 v[50:51], s[0:1], s12, v221, 0
	v_add_co_u32_e64 v106, s[0:1], v108, v42
	v_mov_b32_e32 v47, v44
	v_mov_b32_e32 v44, v51
	v_addc_co_u32_e64 v107, s[0:1], v109, v43, s[0:1]
	v_lshlrev_b64 v[42:43], 4, v[46:47]
	v_mad_u64_u32 v[44:45], s[0:1], s13, v221, v[44:45]
	v_add_u32_e32 v47, 0x33a, v177
	v_mad_u64_u32 v[45:46], s[0:1], s12, v47, 0
	v_add_co_u32_e64 v110, s[0:1], v108, v42
	v_mov_b32_e32 v51, v44
	v_mov_b32_e32 v44, v46
	v_addc_co_u32_e64 v111, s[0:1], v109, v43, s[0:1]
	v_mad_u64_u32 v[46:47], s[0:1], s13, v47, v[44:45]
	v_add_u32_e32 v47, 0x524, v177
	v_lshlrev_b64 v[42:43], 4, v[50:51]
	v_mad_u64_u32 v[50:51], s[0:1], s12, v47, 0
	v_add_co_u32_e64 v112, s[0:1], v108, v42
	v_mov_b32_e32 v44, v51
	v_addc_co_u32_e64 v113, s[0:1], v109, v43, s[0:1]
	v_lshlrev_b64 v[42:43], 4, v[45:46]
	v_mad_u64_u32 v[44:45], s[0:1], s13, v47, v[44:45]
	v_add_u32_e32 v47, 0x70e, v177
	v_mad_u64_u32 v[45:46], s[0:1], s12, v47, 0
	v_add_co_u32_e64 v118, s[0:1], v108, v42
	v_mov_b32_e32 v51, v44
	v_addc_co_u32_e64 v119, s[0:1], v109, v43, s[0:1]
	v_lshlrev_b64 v[42:43], 4, v[50:51]
	v_mov_b32_e32 v44, v46
	v_mad_u64_u32 v[50:51], s[0:1], s12, v235, 0
	v_mad_u64_u32 v[46:47], s[0:1], s13, v47, v[44:45]
	v_add_co_u32_e64 v120, s[0:1], v108, v42
	v_mov_b32_e32 v44, v51
	v_addc_co_u32_e64 v121, s[0:1], v109, v43, s[0:1]
	v_lshlrev_b64 v[42:43], 4, v[45:46]
	v_mad_u64_u32 v[44:45], s[0:1], s13, v235, v[44:45]
	v_add_u32_e32 v47, 0x372, v177
	v_mad_u64_u32 v[45:46], s[0:1], s12, v47, 0
	v_add_co_u32_e64 v126, s[0:1], v108, v42
	v_mov_b32_e32 v51, v44
	v_mov_b32_e32 v44, v46
	v_addc_co_u32_e64 v127, s[0:1], v109, v43, s[0:1]
	v_mad_u64_u32 v[46:47], s[0:1], s13, v47, v[44:45]
	v_add_u32_e32 v47, 0x55c, v177
	v_lshlrev_b64 v[42:43], 4, v[50:51]
	v_mad_u64_u32 v[50:51], s[0:1], s12, v47, 0
	v_add_co_u32_e64 v128, s[0:1], v108, v42
	v_mov_b32_e32 v44, v51
	v_addc_co_u32_e64 v129, s[0:1], v109, v43, s[0:1]
	v_lshlrev_b64 v[42:43], 4, v[45:46]
	v_mad_u64_u32 v[44:45], s[0:1], s13, v47, v[44:45]
	v_add_u32_e32 v47, 0x746, v177
	v_mad_u64_u32 v[45:46], s[0:1], s12, v47, 0
	v_add_co_u32_e64 v146, s[0:1], v108, v42
	v_mov_b32_e32 v51, v44
	v_mov_b32_e32 v44, v46
	v_addc_co_u32_e64 v147, s[0:1], v109, v43, s[0:1]
	v_mad_u64_u32 v[46:47], s[0:1], s13, v47, v[44:45]
	v_lshlrev_b64 v[42:43], 4, v[50:51]
	v_add_co_u32_e64 v148, s[0:1], v108, v42
	v_addc_co_u32_e64 v149, s[0:1], v109, v43, s[0:1]
	v_lshlrev_b64 v[42:43], 4, v[45:46]
	v_add_co_u32_e64 v150, s[0:1], v108, v42
	v_addc_co_u32_e64 v151, s[0:1], v109, v43, s[0:1]
	global_load_dwordx4 v[86:89], v[0:1], off
	global_load_dwordx4 v[82:85], v[2:3], off
	;; [unrolled: 1-line block ×13, first 2 shown]
                                        ; kill: killed $vgpr8 killed $vgpr9
                                        ; kill: killed $vgpr2 killed $vgpr3
                                        ; kill: killed $vgpr16 killed $vgpr17
                                        ; kill: killed $vgpr10 killed $vgpr11
                                        ; kill: killed $vgpr24 killed $vgpr25
                                        ; kill: killed $vgpr4 killed $vgpr5
                                        ; kill: killed $vgpr18 killed $vgpr19
                                        ; kill: killed $vgpr12 killed $vgpr13
                                        ; kill: killed $vgpr6 killed $vgpr7
                                        ; kill: killed $vgpr20 killed $vgpr21
                                        ; kill: killed $vgpr14 killed $vgpr15
                                        ; kill: killed $vgpr22 killed $vgpr23
                                        ; kill: killed $vgpr0 killed $vgpr1
	global_load_dwordx4 v[70:73], v[26:27], off
	global_load_dwordx4 v[90:93], v[28:29], off
	;; [unrolled: 1-line block ×6, first 2 shown]
                                        ; kill: killed $vgpr32 killed $vgpr33
                                        ; kill: killed $vgpr26 killed $vgpr27
                                        ; kill: killed $vgpr34 killed $vgpr35
                                        ; kill: killed $vgpr28 killed $vgpr29
                                        ; kill: killed $vgpr36 killed $vgpr37
                                        ; kill: killed $vgpr30 killed $vgpr31
	global_load_dwordx4 v[122:125], v[38:39], off
	global_load_dwordx4 v[22:25], v[40:41], off
	;; [unrolled: 1-line block ×3, first 2 shown]
                                        ; kill: killed $vgpr40 killed $vgpr41
                                        ; kill: killed $vgpr48 killed $vgpr49
                                        ; kill: killed $vgpr38 killed $vgpr39
	s_nop 0
	global_load_dwordx4 v[46:49], v[106:107], off
	global_load_dwordx4 v[114:117], v[110:111], off
                                        ; kill: killed $vgpr106 killed $vgpr107
                                        ; kill: killed $vgpr110 killed $vgpr111
	global_load_dwordx4 v[26:29], v[112:113], off
	global_load_dwordx4 v[14:17], v[118:119], off
	global_load_dwordx4 v[38:41], v[120:121], off
	s_nop 0
	global_load_dwordx4 v[118:121], v[126:127], off
	global_load_dwordx4 v[30:33], v[128:129], off
	;; [unrolled: 1-line block ×5, first 2 shown]
	s_movk_i32 s0, 0x1ea
	v_cmp_gt_u32_e64 s[0:1], s0, v176
                                        ; implicit-def: $vgpr6_vgpr7
                                        ; implicit-def: $vgpr126_vgpr127
                                        ; implicit-def: $vgpr106_vgpr107
                                        ; implicit-def: $vgpr10_vgpr11
	s_and_saveexec_b64 s[4:5], s[0:1]
	s_cbranch_execz .LBB0_14
; %bb.13:
	v_mad_u64_u32 v[0:1], s[0:1], s12, v176, 0
	v_add_u32_e32 v10, 0x3aa, v177
	v_mad_u64_u32 v[6:7], s[0:1], s12, v10, 0
	s_waitcnt vmcnt(10)
	v_mad_u64_u32 v[8:9], s[0:1], s13, v176, v[1:2]
	v_add_u32_e32 v129, 0x77e, v177
	v_mov_b32_e32 v1, v8
	v_lshlrev_b64 v[0:1], 4, v[0:1]
	v_mad_u64_u32 v[7:8], s[0:1], s13, v10, v[7:8]
	v_add_co_u32_e64 v0, s[0:1], v108, v0
	v_add_u32_e32 v8, 0x594, v177
	v_addc_co_u32_e64 v1, s[0:1], v109, v1, s[0:1]
	v_mad_u64_u32 v[106:107], s[0:1], s12, v8, 0
	v_lshlrev_b64 v[6:7], 4, v[6:7]
	v_add_co_u32_e64 v10, s[0:1], v108, v6
	v_mov_b32_e32 v6, v107
	v_addc_co_u32_e64 v11, s[0:1], v109, v7, s[0:1]
	v_mad_u64_u32 v[126:127], s[0:1], s13, v8, v[6:7]
	v_mad_u64_u32 v[127:128], s[0:1], s12, v129, 0
	v_mov_b32_e32 v107, v126
	global_load_dwordx4 v[6:9], v[0:1], off
	s_nop 0
	global_load_dwordx4 v[10:13], v[10:11], off
	v_lshlrev_b64 v[0:1], 4, v[106:107]
	v_mov_b32_e32 v106, v128
	v_mad_u64_u32 v[106:107], s[0:1], s13, v129, v[106:107]
	v_add_co_u32_e64 v0, s[0:1], v108, v0
	v_mov_b32_e32 v128, v106
	v_lshlrev_b64 v[106:107], 4, v[127:128]
	v_addc_co_u32_e64 v1, s[0:1], v109, v1, s[0:1]
	v_add_co_u32_e64 v126, s[0:1], v108, v106
	v_addc_co_u32_e64 v127, s[0:1], v109, v107, s[0:1]
	global_load_dwordx4 v[106:109], v[0:1], off
	s_nop 0
	global_load_dwordx4 v[126:129], v[126:127], off
.LBB0_14:
	s_or_b64 exec, exec, s[4:5]
	v_add_u32_e32 v222, 56, v177
.LBB0_15:
	s_or_b64 exec, exec, s[2:3]
	s_waitcnt vmcnt(29)
	v_add_f64 v[0:1], v[86:87], -v[102:103]
	s_waitcnt vmcnt(28)
	v_add_f64 v[102:103], v[82:83], -v[142:143]
	v_add_f64 v[142:143], v[84:85], -v[144:145]
	s_waitcnt vmcnt(25)
	v_add_f64 v[154:155], v[94:95], -v[98:99]
	s_waitcnt vmcnt(24)
	;; [unrolled: 2-line block ×3, first 2 shown]
	v_add_f64 v[90:91], v[50:51], -v[90:91]
	v_add_f64 v[138:139], v[60:61], -v[140:141]
	;; [unrolled: 1-line block ×3, first 2 shown]
	v_fma_f64 v[144:145], v[86:87], 2.0, -v[0:1]
	v_fma_f64 v[86:87], v[82:83], 2.0, -v[102:103]
	v_add_f64 v[82:83], v[68:69], -v[136:137]
	v_fma_f64 v[94:95], v[94:95], 2.0, -v[154:155]
	v_fma_f64 v[146:147], v[58:59], 2.0, -v[98:99]
	v_add_f64 v[136:137], v[142:143], v[0:1]
	v_add_f64 v[74:75], v[66:67], -v[134:135]
	s_waitcnt vmcnt(16)
	v_add_f64 v[58:59], v[70:71], -v[130:131]
	v_fma_f64 v[160:161], v[50:51], 2.0, -v[90:91]
	s_waitcnt vmcnt(12)
	v_add_f64 v[50:51], v[42:43], -v[122:123]
	v_add_f64 v[134:135], v[144:145], -v[86:87]
	;; [unrolled: 1-line block ×4, first 2 shown]
	v_fma_f64 v[146:147], v[0:1], 2.0, -v[136:137]
	v_add_f64 v[0:1], v[78:79], -v[62:63]
	v_fma_f64 v[54:55], v[54:55], 2.0, -v[140:141]
	v_fma_f64 v[66:67], v[66:67], 2.0, -v[74:75]
	v_fma_f64 v[70:71], v[70:71], 2.0, -v[58:59]
	v_fma_f64 v[42:43], v[42:43], 2.0, -v[50:51]
	v_add_f64 v[150:151], v[82:83], v[140:141]
	v_add_f64 v[158:159], v[86:87], v[90:91]
	v_fma_f64 v[152:153], v[94:95], 2.0, -v[130:131]
	v_fma_f64 v[62:63], v[78:79], 2.0, -v[0:1]
	s_waitcnt vmcnt(1)
	v_add_f64 v[78:79], v[30:31], -v[34:35]
	v_add_f64 v[148:149], v[54:55], -v[66:67]
	;; [unrolled: 1-line block ×6, first 2 shown]
	s_waitcnt vmcnt(0)
	v_add_f64 v[34:35], v[18:19], -v[110:111]
	v_add_f64 v[164:165], v[62:63], -v[42:43]
	;; [unrolled: 1-line block ×3, first 2 shown]
	v_fma_f64 v[122:123], v[54:55], 2.0, -v[148:149]
	v_add_f64 v[54:55], v[44:45], -v[124:125]
	v_fma_f64 v[124:125], v[140:141], 2.0, -v[150:151]
	v_fma_f64 v[162:163], v[90:91], 2.0, -v[158:159]
	;; [unrolled: 1-line block ×3, first 2 shown]
	v_add_f64 v[22:23], v[4:5], -v[116:117]
	v_fma_f64 v[94:95], v[26:27], 2.0, -v[70:71]
	v_fma_f64 v[2:3], v[2:3], 2.0, -v[42:43]
	v_add_f64 v[26:27], v[16:17], -v[120:121]
	v_fma_f64 v[46:47], v[14:15], 2.0, -v[38:39]
	v_fma_f64 v[140:141], v[30:31], 2.0, -v[78:79]
	;; [unrolled: 1-line block ×3, first 2 shown]
	v_add_f64 v[14:15], v[20:21], -v[112:113]
	v_add_f64 v[132:133], v[138:139], v[154:155]
	v_add_f64 v[166:167], v[54:55], v[0:1]
	v_add_f64 v[114:115], v[90:91], -v[2:3]
	v_add_f64 v[116:117], v[22:23], v[66:67]
	v_add_f64 v[118:119], v[94:95], -v[46:47]
	;; [unrolled: 2-line block ×4, first 2 shown]
	v_add_f64 v[46:47], v[12:13], -v[128:129]
	v_fma_f64 v[144:145], v[144:145], 2.0, -v[134:135]
	v_fma_f64 v[154:155], v[154:155], 2.0, -v[132:133]
	;; [unrolled: 1-line block ×11, first 2 shown]
	v_add_f64 v[18:19], v[10:11], -v[126:127]
	v_add_f64 v[2:3], v[46:47], v[30:31]
	v_lshl_add_u32 v66, v177, 5, 0
	v_lshl_add_u32 v67, v222, 5, 0
	;; [unrolled: 1-line block ×8, first 2 shown]
	v_cmp_gt_u32_e64 s[0:1], 42, v177
	v_lshl_add_u32 v63, v176, 5, 0
	buffer_store_dword v0, off, s[36:39], 0 offset:16 ; 4-byte Folded Spill
	s_nop 0
	buffer_store_dword v1, off, s[36:39], 0 offset:20 ; 4-byte Folded Spill
	buffer_store_dword v2, off, s[36:39], 0 offset:24 ; 4-byte Folded Spill
	;; [unrolled: 1-line block ×3, first 2 shown]
	ds_write_b128 v66, v[144:147]
	ds_write_b128 v66, v[134:137] offset:16
	ds_write_b128 v67, v[152:155]
	ds_write_b128 v67, v[130:133] offset:16
	;; [unrolled: 2-line block ×8, first 2 shown]
	s_and_saveexec_b64 s[2:3], s[0:1]
	s_cbranch_execz .LBB0_17
; %bb.16:
	v_fma_f64 v[6:7], v[6:7], 2.0, -v[30:31]
	v_fma_f64 v[0:1], v[10:11], 2.0, -v[18:19]
	v_add_f64 v[116:117], v[46:47], v[30:31]
	v_add_f64 v[114:115], v[6:7], -v[0:1]
	v_fma_f64 v[112:113], v[30:31], 2.0, -v[116:117]
	v_mov_b32_e32 v2, v116
	v_mov_b32_e32 v3, v117
	v_fma_f64 v[110:111], v[6:7], 2.0, -v[114:115]
	ds_write_b128 v63, v[110:113]
	buffer_store_dword v0, off, s[36:39], 0 offset:16 ; 4-byte Folded Spill
	s_nop 0
	buffer_store_dword v1, off, s[36:39], 0 offset:20 ; 4-byte Folded Spill
	buffer_store_dword v2, off, s[36:39], 0 offset:24 ; 4-byte Folded Spill
	;; [unrolled: 1-line block ×3, first 2 shown]
	ds_write_b128 v63, v[114:117] offset:16
.LBB0_17:
	s_or_b64 exec, exec, s[2:3]
	v_add_f64 v[0:1], v[88:89], -v[104:105]
	v_add_f64 v[6:7], v[96:97], -v[100:101]
	v_fma_f64 v[10:11], v[84:85], 2.0, -v[142:143]
	v_add_f64 v[64:65], v[80:81], -v[64:65]
	v_add_f64 v[30:31], v[56:57], -v[76:77]
	v_fma_f64 v[68:69], v[68:69], 2.0, -v[82:83]
	;; [unrolled: 3-line block ×4, first 2 shown]
	v_add_f64 v[74:75], v[30:31], -v[74:75]
	v_fma_f64 v[56:57], v[56:57], 2.0, -v[30:31]
	v_fma_f64 v[16:17], v[16:17], 2.0, -v[26:27]
	;; [unrolled: 1-line block ×3, first 2 shown]
	v_add_f64 v[82:83], v[88:89], -v[10:11]
	v_fma_f64 v[10:11], v[80:81], 2.0, -v[64:65]
	v_fma_f64 v[116:117], v[0:1], 2.0, -v[84:85]
	;; [unrolled: 1-line block ×4, first 2 shown]
	v_add_f64 v[6:7], v[24:25], -v[48:49]
	v_fma_f64 v[128:129], v[30:31], 2.0, -v[74:75]
	v_add_f64 v[30:31], v[32:33], -v[36:37]
	v_fma_f64 v[93:94], v[52:53], 2.0, -v[76:77]
	v_fma_f64 v[14:15], v[20:21], 2.0, -v[14:15]
	;; [unrolled: 1-line block ×3, first 2 shown]
	v_add_f64 v[154:155], v[40:41], -v[38:39]
	v_add_f64 v[134:135], v[10:11], -v[0:1]
	v_fma_f64 v[24:25], v[24:25], 2.0, -v[6:7]
	v_fma_f64 v[0:1], v[4:5], 2.0, -v[22:23]
	;; [unrolled: 1-line block ×4, first 2 shown]
	v_add_f64 v[146:147], v[6:7], -v[42:43]
	v_add_f64 v[52:53], v[93:94], -v[86:87]
	v_add_f64 v[158:159], v[30:31], -v[34:35]
	v_add_f64 v[98:99], v[91:92], -v[60:61]
	v_add_f64 v[72:73], v[56:57], -v[68:69]
	v_add_f64 v[144:145], v[24:25], -v[0:1]
	v_add_f64 v[0:1], v[8:9], -v[108:109]
	v_add_f64 v[152:153], v[4:5], -v[16:17]
	v_add_f64 v[156:157], v[22:23], -v[14:15]
	v_add_f64 v[54:55], v[76:77], -v[58:59]
	v_lshl_add_u32 v223, v177, 3, 0
	s_movk_i32 s2, 0xffe8
	v_fma_f64 v[114:115], v[88:89], 2.0, -v[82:83]
	v_add_f64 v[136:137], v[64:65], -v[50:51]
	v_add_f64 v[2:3], v[0:1], -v[18:19]
	buffer_store_dword v0, off, s[36:39], 0 ; 4-byte Folded Spill
	s_nop 0
	buffer_store_dword v1, off, s[36:39], 0 offset:4 ; 4-byte Folded Spill
	buffer_store_dword v2, off, s[36:39], 0 offset:8 ; 4-byte Folded Spill
	;; [unrolled: 1-line block ×3, first 2 shown]
	v_fma_f64 v[162:163], v[6:7], 2.0, -v[146:147]
	v_fma_f64 v[164:165], v[4:5], 2.0, -v[152:153]
	v_mad_i32_i24 v4, v220, s2, v62
	v_add_u32_e32 v213, 0x1000, v223
	v_add_u32_e32 v212, 0x1800, v223
	v_add_u32_e32 v198, 0x2000, v223
	v_add_u32_e32 v215, 0x2800, v223
	v_add_u32_e32 v214, 0x3000, v223
	v_add_u32_e32 v48, 0x800, v223
	v_lshl_add_u32 v3, v211, 3, 0
	v_add_u32_e32 v49, 0x2400, v223
	v_add_u32_e32 v50, 0x3800, v223
	v_lshl_add_u32 v6, v218, 3, 0
	v_add_u32_e32 v199, 0x1c00, v223
	v_fma_f64 v[130:131], v[93:94], 2.0, -v[52:53]
	v_fma_f64 v[160:161], v[24:25], 2.0, -v[144:145]
	v_fma_f64 v[166:167], v[40:41], 2.0, -v[154:155]
	v_fma_f64 v[168:169], v[22:23], 2.0, -v[156:157]
	v_fma_f64 v[170:171], v[30:31], 2.0, -v[158:159]
	s_waitcnt lgkmcnt(0)
	; wave barrier
	s_waitcnt lgkmcnt(0)
	ds_read_b64 v[194:195], v223
	ds_read2_b64 v[118:121], v213 offset0:48 offset1:104
	ds_read2_b64 v[22:25], v212 offset0:16 offset1:72
	ds_read2_b64 v[110:113], v198 offset0:96 offset1:152
	ds_read2_b64 v[14:17], v215 offset0:64 offset1:120
	ds_read2_b64 v[106:109], v214 offset0:144 offset1:200
	v_lshl_add_u32 v2, v222, 3, 0
	ds_read2_b64 v[102:105], v48 offset0:80 offset1:136
	ds_read2_b64 v[94:97], v212 offset0:128 offset1:184
	;; [unrolled: 1-line block ×3, first 2 shown]
	ds_read_b64 v[190:191], v3
	ds_read2_b64 v[42:45], v213 offset0:160 offset1:216
	ds_read2_b64 v[38:41], v49 offset0:80 offset1:136
	ds_read2_b64 v[34:37], v50 offset1:56
	ds_read_b64 v[150:151], v6
	ds_read2_b64 v[30:33], v48 offset0:192 offset1:248
	ds_read2_b64 v[26:29], v199 offset0:112 offset1:168
	;; [unrolled: 1-line block ×3, first 2 shown]
	v_lshl_add_u32 v7, v219, 3, 0
	ds_read_b64 v[86:87], v4
	ds_read_b64 v[138:139], v7
	;; [unrolled: 1-line block ×3, first 2 shown]
	ds_read_b64 v[196:197], v223 offset:15232
	v_fma_f64 v[122:123], v[91:92], 2.0, -v[98:99]
	v_fma_f64 v[126:127], v[56:57], 2.0, -v[72:73]
	;; [unrolled: 1-line block ×4, first 2 shown]
	v_mul_i32_i24_e32 v10, 0xffffffe8, v220
	v_fma_f64 v[142:143], v[64:65], 2.0, -v[136:137]
	s_waitcnt lgkmcnt(0)
	; wave barrier
	s_waitcnt lgkmcnt(0)
	ds_write_b128 v66, v[114:117]
	ds_write_b128 v66, v[82:85] offset:16
	ds_write_b128 v67, v[122:125]
	ds_write_b128 v67, v[98:101] offset:16
	;; [unrolled: 2-line block ×8, first 2 shown]
	s_and_saveexec_b64 s[2:3], s[0:1]
	s_cbranch_execz .LBB0_19
; %bb.18:
	buffer_load_dword v51, off, s[36:39], 0 ; 4-byte Folded Reload
	buffer_load_dword v52, off, s[36:39], 0 offset:4 ; 4-byte Folded Reload
	buffer_load_dword v53, off, s[36:39], 0 offset:8 ; 4-byte Folded Reload
	;; [unrolled: 1-line block ×3, first 2 shown]
	v_fma_f64 v[8:9], v[8:9], 2.0, -v[0:1]
	v_fma_f64 v[4:5], v[12:13], 2.0, -v[46:47]
	v_add_f64 v[64:65], v[8:9], -v[4:5]
	s_waitcnt vmcnt(2)
	v_fma_f64 v[51:52], v[8:9], 2.0, -v[64:65]
	s_waitcnt vmcnt(0)
	v_mov_b32_e32 v67, v54
	v_mov_b32_e32 v66, v53
	v_fma_f64 v[53:54], v[0:1], 2.0, -v[66:67]
	v_mov_b32_e32 v4, v66
	v_mov_b32_e32 v5, v67
	ds_write_b128 v63, v[51:54]
	buffer_store_dword v2, off, s[36:39], 0 ; 4-byte Folded Spill
	s_nop 0
	buffer_store_dword v3, off, s[36:39], 0 offset:4 ; 4-byte Folded Spill
	buffer_store_dword v4, off, s[36:39], 0 offset:8 ; 4-byte Folded Spill
	;; [unrolled: 1-line block ×3, first 2 shown]
	ds_write_b128 v63, v[64:67] offset:16
.LBB0_19:
	s_or_b64 exec, exec, s[2:3]
	v_and_b32_e32 v200, 3, v177
	v_mul_u32_u24_e32 v70, 6, v200
	v_add_u32_e32 v224, v62, v10
	v_lshlrev_b32_e32 v144, 4, v70
	s_waitcnt lgkmcnt(0)
	; wave barrier
	s_waitcnt lgkmcnt(0)
	ds_read_b64 v[126:127], v223
	ds_read_b64 v[88:89], v224
	ds_read2_b64 v[140:143], v213 offset0:48 offset1:104
	ds_read2_b64 v[54:57], v212 offset0:16 offset1:72
	;; [unrolled: 1-line block ×5, first 2 shown]
	ds_read_b64 v[124:125], v2
	ds_read2_b64 v[166:169], v48 offset0:80 offset1:136
	ds_read2_b64 v[170:173], v212 offset0:128 offset1:184
	;; [unrolled: 1-line block ×3, first 2 shown]
	ds_read_b64 v[122:123], v3
	ds_read2_b64 v[90:93], v213 offset0:160 offset1:216
	ds_read2_b64 v[78:81], v49 offset0:80 offset1:136
	ds_read2_b64 v[66:69], v50 offset1:56
	ds_read_b64 v[4:5], v6
	ds_read2_b64 v[62:65], v48 offset0:192 offset1:248
	ds_read2_b64 v[50:53], v199 offset0:112 offset1:168
	;; [unrolled: 1-line block ×3, first 2 shown]
	ds_read_b64 v[0:1], v7
	ds_read_b64 v[12:13], v223 offset:15232
	global_load_dwordx4 v[70:73], v144, s[8:9] offset:48
	global_load_dwordx4 v[74:77], v144, s[8:9] offset:32
	;; [unrolled: 1-line block ×3, first 2 shown]
	global_load_dwordx4 v[98:101], v144, s[8:9]
	s_mov_b32 s4, 0x37e14327
	s_mov_b32 s2, 0x36b3c0b5
	;; [unrolled: 1-line block ×20, first 2 shown]
	v_lshl_add_u32 v2, v222, 3, 0
	v_cmp_gt_u32_e64 s[0:1], 28, v177
	s_waitcnt vmcnt(0) lgkmcnt(14)
	v_mul_f64 v[128:129], v[88:89], v[100:101]
	v_fma_f64 v[128:129], v[86:87], v[98:99], v[128:129]
	v_mul_f64 v[86:87], v[86:87], v[100:101]
	v_fma_f64 v[132:133], v[88:89], v[98:99], -v[86:87]
	v_mul_f64 v[86:87], v[140:141], v[84:85]
	v_fma_f64 v[130:131], v[118:119], v[82:83], v[86:87]
	v_mul_f64 v[86:87], v[118:119], v[84:85]
	v_fma_f64 v[134:135], v[140:141], v[82:83], -v[86:87]
	v_mul_f64 v[86:87], v[56:57], v[76:77]
	v_fma_f64 v[118:119], v[24:25], v[74:75], v[86:87]
	global_load_dwordx4 v[86:89], v144, s[8:9] offset:80
	global_load_dwordx4 v[201:204], v144, s[8:9] offset:64
	v_mul_f64 v[24:25], v[24:25], v[76:77]
	buffer_store_dword v3, off, s[36:39], 0 offset:72 ; 4-byte Folded Spill
	buffer_store_dword v6, off, s[36:39], 0 offset:76 ; 4-byte Folded Spill
	;; [unrolled: 1-line block ×3, first 2 shown]
	s_waitcnt lgkmcnt(0)
	; wave barrier
	s_waitcnt lgkmcnt(0)
	v_lshl_add_u32 v6, v218, 3, 0
	v_lshl_add_u32 v3, v211, 3, 0
	v_lshl_add_u32 v7, v219, 3, 0
	v_fma_f64 v[56:57], v[56:57], v[74:75], -v[24:25]
	v_mul_f64 v[24:25], v[146:147], v[72:73]
	v_fma_f64 v[136:137], v[110:111], v[70:71], v[24:25]
	v_mul_f64 v[24:25], v[110:111], v[72:73]
	v_fma_f64 v[110:111], v[146:147], v[70:71], -v[24:25]
	s_waitcnt vmcnt(3)
	v_mul_f64 v[24:25], v[10:11], v[203:204]
	v_fma_f64 v[154:155], v[16:17], v[201:202], v[24:25]
	v_mul_f64 v[16:17], v[16:17], v[203:204]
	v_fma_f64 v[156:157], v[10:11], v[201:202], -v[16:17]
	v_mul_f64 v[10:11], v[162:163], v[88:89]
	v_add_f64 v[16:17], v[118:119], v[136:137]
	v_fma_f64 v[158:159], v[106:107], v[86:87], v[10:11]
	v_mul_f64 v[10:11], v[106:107], v[88:89]
	v_fma_f64 v[160:161], v[162:163], v[86:87], -v[10:11]
	v_mul_f64 v[10:11], v[166:167], v[100:101]
	v_fma_f64 v[106:107], v[102:103], v[98:99], v[10:11]
	v_mul_f64 v[10:11], v[102:103], v[100:101]
	v_fma_f64 v[144:145], v[166:167], v[98:99], -v[10:11]
	v_mul_f64 v[10:11], v[142:143], v[84:85]
	;; [unrolled: 4-line block ×13, first 2 shown]
	v_fma_f64 v[60:61], v[30:31], v[98:99], v[10:11]
	v_mul_f64 v[10:11], v[30:31], v[100:101]
	v_add_f64 v[30:31], v[120:121], v[140:141]
	v_fma_f64 v[66:67], v[62:63], v[98:99], -v[10:11]
	v_mul_f64 v[10:11], v[92:93], v[84:85]
	v_fma_f64 v[62:63], v[44:45], v[82:83], v[10:11]
	v_mul_f64 v[10:11], v[44:45], v[84:85]
	v_add_f64 v[44:45], v[90:91], v[112:113]
	v_fma_f64 v[92:93], v[92:93], v[82:83], -v[10:11]
	v_mul_f64 v[10:11], v[50:51], v[76:77]
	v_fma_f64 v[78:79], v[26:27], v[74:75], v[10:11]
	v_mul_f64 v[10:11], v[26:27], v[76:77]
	v_fma_f64 v[170:171], v[50:51], v[74:75], -v[10:11]
	v_mul_f64 v[10:11], v[80:81], v[72:73]
	v_fma_f64 v[172:173], v[40:41], v[70:71], v[10:11]
	v_mul_f64 v[10:11], v[40:41], v[72:73]
	;; [unrolled: 4-line block ×3, first 2 shown]
	v_add_f64 v[18:19], v[110:111], -v[56:57]
	v_fma_f64 v[186:187], v[46:47], v[201:202], -v[10:11]
	v_mul_f64 v[10:11], v[68:69], v[88:89]
	v_add_f64 v[46:47], v[166:167], -v[96:97]
	v_fma_f64 v[184:185], v[36:37], v[86:87], v[10:11]
	v_mul_f64 v[10:11], v[36:37], v[88:89]
	v_fma_f64 v[188:189], v[68:69], v[86:87], -v[10:11]
	v_mul_f64 v[10:11], v[64:65], v[100:101]
	v_fma_f64 v[68:69], v[32:33], v[98:99], v[10:11]
	v_mul_f64 v[10:11], v[32:33], v[100:101]
	v_add_f64 v[32:33], v[152:153], -v[142:143]
	v_fma_f64 v[80:81], v[64:65], v[98:99], -v[10:11]
	v_mul_f64 v[10:11], v[54:55], v[84:85]
	v_fma_f64 v[64:65], v[22:23], v[82:83], v[10:11]
	v_mul_f64 v[10:11], v[22:23], v[84:85]
	v_fma_f64 v[84:85], v[54:55], v[82:83], -v[10:11]
	v_mul_f64 v[10:11], v[52:53], v[76:77]
	v_fma_f64 v[82:83], v[28:29], v[74:75], v[10:11]
	v_mul_f64 v[10:11], v[28:29], v[76:77]
	;; [unrolled: 4-line block ×3, first 2 shown]
	v_add_f64 v[14:15], v[134:135], -v[156:157]
	v_add_f64 v[205:206], v[82:83], v[74:75]
	v_fma_f64 v[98:99], v[8:9], v[70:71], -v[10:11]
	v_mul_f64 v[8:9], v[48:49], v[203:204]
	v_add_f64 v[10:11], v[132:133], -v[160:161]
	v_add_f64 v[26:27], v[18:19], -v[14:15]
	v_add_f64 v[207:208], v[98:99], -v[76:77]
	v_fma_f64 v[70:71], v[20:21], v[201:202], v[8:9]
	v_mul_f64 v[8:9], v[20:21], v[203:204]
	v_mul_f64 v[26:27], v[26:27], s[10:11]
	v_fma_f64 v[100:101], v[48:49], v[201:202], -v[8:9]
	v_mul_f64 v[8:9], v[12:13], v[88:89]
	v_fma_f64 v[72:73], v[196:197], v[86:87], v[8:9]
	v_mul_f64 v[8:9], v[196:197], v[88:89]
	v_fma_f64 v[86:87], v[12:13], v[86:87], -v[8:9]
	v_add_f64 v[8:9], v[128:129], v[158:159]
	v_add_f64 v[12:13], v[130:131], v[154:155]
	v_add_f64 v[24:25], v[8:9], -v[16:17]
	v_add_f64 v[20:21], v[12:13], v[8:9]
	v_add_f64 v[22:23], v[12:13], -v[8:9]
	v_add_f64 v[12:13], v[16:17], -v[12:13]
	v_add_f64 v[8:9], v[18:19], v[14:15]
	v_add_f64 v[14:15], v[14:15], -v[10:11]
	v_add_f64 v[18:19], v[10:11], -v[18:19]
	v_add_f64 v[16:17], v[16:17], v[20:21]
	v_mul_f64 v[20:21], v[24:25], s[4:5]
	v_mul_f64 v[24:25], v[12:13], s[2:3]
	v_add_f64 v[10:11], v[8:9], v[10:11]
	v_mul_f64 v[28:29], v[14:15], s[6:7]
	v_fma_f64 v[14:15], v[14:15], s[6:7], -v[26:27]
	v_add_f64 v[8:9], v[194:195], v[16:17]
	v_fma_f64 v[12:13], v[12:13], s[2:3], v[20:21]
	v_fma_f64 v[24:25], v[22:23], s[18:19], -v[24:25]
	v_fma_f64 v[20:21], v[22:23], s[20:21], -v[20:21]
	v_fma_f64 v[22:23], v[18:19], s[22:23], v[26:27]
	v_fma_f64 v[18:19], v[18:19], s[26:27], -v[28:29]
	v_add_f64 v[28:29], v[146:147], -v[162:163]
	v_fma_f64 v[16:17], v[16:17], s[16:17], v[8:9]
	v_fma_f64 v[22:23], v[10:11], s[24:25], v[22:23]
	;; [unrolled: 1-line block ×3, first 2 shown]
	v_add_f64 v[40:41], v[32:33], -v[28:29]
	v_add_f64 v[26:27], v[12:13], v[16:17]
	v_add_f64 v[20:21], v[20:21], v[16:17]
	;; [unrolled: 1-line block ×3, first 2 shown]
	v_fma_f64 v[16:17], v[10:11], s[24:25], v[14:15]
	v_mul_f64 v[40:41], v[40:41], s[10:11]
	v_add_f64 v[10:11], v[22:23], v[26:27]
	v_add_f64 v[12:13], v[18:19], v[20:21]
	v_add_f64 v[18:19], v[20:21], -v[18:19]
	v_add_f64 v[20:21], v[26:27], -v[22:23]
	v_add_f64 v[22:23], v[106:107], v[114:115]
	v_add_f64 v[26:27], v[102:103], v[148:149]
	v_add_f64 v[14:15], v[24:25], -v[16:17]
	v_add_f64 v[16:17], v[16:17], v[24:25]
	v_add_f64 v[24:25], v[144:145], -v[164:165]
	v_add_f64 v[38:39], v[22:23], -v[30:31]
	v_add_f64 v[34:35], v[26:27], v[22:23]
	v_add_f64 v[36:37], v[26:27], -v[22:23]
	;; [unrolled: 3-line block ×3, first 2 shown]
	v_add_f64 v[32:33], v[24:25], -v[32:33]
	v_add_f64 v[30:31], v[30:31], v[34:35]
	v_mul_f64 v[34:35], v[38:39], s[4:5]
	v_mul_f64 v[38:39], v[26:27], s[2:3]
	v_add_f64 v[24:25], v[22:23], v[24:25]
	v_mul_f64 v[42:43], v[28:29], s[6:7]
	v_fma_f64 v[28:29], v[28:29], s[6:7], -v[40:41]
	v_add_f64 v[22:23], v[192:193], v[30:31]
	v_fma_f64 v[26:27], v[26:27], s[2:3], v[34:35]
	v_fma_f64 v[38:39], v[36:37], s[18:19], -v[38:39]
	v_fma_f64 v[34:35], v[36:37], s[20:21], -v[34:35]
	v_fma_f64 v[36:37], v[32:33], s[22:23], v[40:41]
	v_fma_f64 v[32:33], v[32:33], s[26:27], -v[42:43]
	v_add_f64 v[42:43], v[108:109], -v[174:175]
	v_add_f64 v[192:193], v[178:179], -v[170:171]
	v_fma_f64 v[30:31], v[30:31], s[16:17], v[22:23]
	v_fma_f64 v[36:37], v[24:25], s[24:25], v[36:37]
	;; [unrolled: 1-line block ×3, first 2 shown]
	v_add_f64 v[52:53], v[46:47], v[42:43]
	v_add_f64 v[54:55], v[46:47], -v[42:43]
	v_add_f64 v[40:41], v[26:27], v[30:31]
	v_add_f64 v[34:35], v[34:35], v[30:31]
	;; [unrolled: 1-line block ×3, first 2 shown]
	v_fma_f64 v[30:31], v[24:25], s[24:25], v[28:29]
	v_mul_f64 v[54:55], v[54:55], s[10:11]
	v_add_f64 v[24:25], v[36:37], v[40:41]
	v_add_f64 v[26:27], v[32:33], v[34:35]
	v_add_f64 v[32:33], v[34:35], -v[32:33]
	v_add_f64 v[34:35], v[40:41], -v[36:37]
	v_add_f64 v[36:37], v[58:59], v[116:117]
	v_add_f64 v[40:41], v[94:95], v[168:169]
	v_add_f64 v[28:29], v[38:39], -v[30:31]
	v_add_f64 v[30:31], v[30:31], v[38:39]
	v_add_f64 v[38:39], v[104:105], -v[182:183]
	;; [unrolled: 2-line block ×3, first 2 shown]
	v_add_f64 v[36:37], v[36:37], -v[44:45]
	v_add_f64 v[40:41], v[44:45], -v[40:41]
	;; [unrolled: 1-line block ×4, first 2 shown]
	v_add_f64 v[38:39], v[52:53], v[38:39]
	v_add_f64 v[44:45], v[44:45], v[48:49]
	v_mul_f64 v[36:37], v[36:37], s[4:5]
	v_mul_f64 v[52:53], v[40:41], s[2:3]
	;; [unrolled: 1-line block ×3, first 2 shown]
	v_fma_f64 v[42:43], v[42:43], s[6:7], -v[54:55]
	v_add_f64 v[48:49], v[190:191], v[44:45]
	v_add_f64 v[190:191], v[78:79], v[172:173]
	v_fma_f64 v[40:41], v[40:41], s[2:3], v[36:37]
	v_fma_f64 v[52:53], v[50:51], s[18:19], -v[52:53]
	v_fma_f64 v[36:37], v[50:51], s[20:21], -v[36:37]
	v_fma_f64 v[50:51], v[46:47], s[22:23], v[54:55]
	v_fma_f64 v[46:47], v[46:47], s[26:27], -v[88:89]
	v_fma_f64 v[42:43], v[38:39], s[24:25], v[42:43]
	v_fma_f64 v[44:45], v[44:45], s[16:17], v[48:49]
	v_add_f64 v[88:89], v[92:93], -v[186:187]
	v_add_f64 v[40:41], v[40:41], v[44:45]
	v_add_f64 v[52:53], v[52:53], v[44:45]
	;; [unrolled: 1-line block ×3, first 2 shown]
	v_fma_f64 v[44:45], v[38:39], s[24:25], v[50:51]
	v_fma_f64 v[38:39], v[38:39], s[24:25], v[46:47]
	v_add_f64 v[201:202], v[192:193], v[88:89]
	v_add_f64 v[203:204], v[192:193], -v[88:89]
	v_add_f64 v[54:55], v[52:53], -v[42:43]
	v_add_f64 v[42:43], v[42:43], v[52:53]
	v_add_f64 v[46:47], v[44:45], v[40:41]
	v_add_f64 v[50:51], v[38:39], v[36:37]
	v_add_f64 v[36:37], v[36:37], -v[38:39]
	v_add_f64 v[38:39], v[40:41], -v[44:45]
	v_add_f64 v[40:41], v[60:61], v[184:185]
	v_add_f64 v[52:53], v[62:63], v[180:181]
	v_add_f64 v[44:45], v[66:67], -v[188:189]
	v_add_f64 v[194:195], v[52:53], v[40:41]
	v_add_f64 v[196:197], v[52:53], -v[40:41]
	v_add_f64 v[40:41], v[40:41], -v[190:191]
	;; [unrolled: 1-line block ×5, first 2 shown]
	v_add_f64 v[44:45], v[201:202], v[44:45]
	v_mul_f64 v[201:202], v[203:204], s[10:11]
	v_add_f64 v[190:191], v[190:191], v[194:195]
	v_mul_f64 v[40:41], v[40:41], s[4:5]
	v_mul_f64 v[194:195], v[52:53], s[2:3]
	;; [unrolled: 1-line block ×3, first 2 shown]
	v_fma_f64 v[88:89], v[88:89], s[6:7], -v[201:202]
	v_add_f64 v[150:151], v[150:151], v[190:191]
	v_fma_f64 v[52:53], v[52:53], s[2:3], v[40:41]
	v_fma_f64 v[194:195], v[196:197], s[18:19], -v[194:195]
	v_fma_f64 v[40:41], v[196:197], s[20:21], -v[40:41]
	v_fma_f64 v[196:197], v[192:193], s[22:23], v[201:202]
	v_fma_f64 v[192:193], v[192:193], s[26:27], -v[203:204]
	v_fma_f64 v[88:89], v[44:45], s[24:25], v[88:89]
	v_fma_f64 v[190:191], v[190:191], s[16:17], v[150:151]
	v_add_f64 v[203:204], v[84:85], -v[100:101]
	v_add_f64 v[52:53], v[52:53], v[190:191]
	v_add_f64 v[194:195], v[194:195], v[190:191]
	;; [unrolled: 1-line block ×3, first 2 shown]
	v_fma_f64 v[190:191], v[44:45], s[24:25], v[196:197]
	v_fma_f64 v[44:45], v[44:45], s[24:25], v[192:193]
	v_add_f64 v[232:233], v[207:208], v[203:204]
	v_add_f64 v[236:237], v[207:208], -v[203:204]
	v_add_f64 v[201:202], v[194:195], -v[88:89]
	v_add_f64 v[194:195], v[88:89], v[194:195]
	v_add_f64 v[192:193], v[190:191], v[52:53]
	;; [unrolled: 1-line block ×3, first 2 shown]
	v_add_f64 v[40:41], v[40:41], -v[44:45]
	v_add_f64 v[44:45], v[52:53], -v[190:191]
	v_add_f64 v[52:53], v[68:69], v[72:73]
	v_add_f64 v[190:191], v[64:65], v[70:71]
	v_add_f64 v[88:89], v[80:81], -v[86:87]
	v_add_f64 v[209:210], v[190:191], v[52:53]
	v_add_f64 v[216:217], v[190:191], -v[52:53]
	v_add_f64 v[52:53], v[52:53], -v[205:206]
	;; [unrolled: 1-line block ×5, first 2 shown]
	v_add_f64 v[88:89], v[232:233], v[88:89]
	v_mul_f64 v[232:233], v[236:237], s[10:11]
	v_add_f64 v[205:206], v[205:206], v[209:210]
	v_mul_f64 v[52:53], v[52:53], s[4:5]
	v_mul_f64 v[236:237], v[203:204], s[6:7]
	v_fma_f64 v[203:204], v[203:204], s[6:7], -v[232:233]
	v_add_f64 v[209:210], v[138:139], v[205:206]
	v_mul_f64 v[138:139], v[190:191], s[2:3]
	v_fma_f64 v[190:191], v[190:191], s[2:3], v[52:53]
	v_fma_f64 v[52:53], v[216:217], s[20:21], -v[52:53]
	v_fma_f64 v[203:204], v[88:89], s[24:25], v[203:204]
	v_fma_f64 v[205:206], v[205:206], s[16:17], v[209:210]
	v_fma_f64 v[138:139], v[216:217], s[18:19], -v[138:139]
	v_fma_f64 v[216:217], v[207:208], s[22:23], v[232:233]
	v_fma_f64 v[207:208], v[207:208], s[26:27], -v[236:237]
	v_add_f64 v[190:191], v[190:191], v[205:206]
	v_add_f64 v[138:139], v[138:139], v[205:206]
	;; [unrolled: 1-line block ×3, first 2 shown]
	v_fma_f64 v[205:206], v[88:89], s[24:25], v[216:217]
	v_fma_f64 v[88:89], v[88:89], s[24:25], v[207:208]
	v_add_f64 v[232:233], v[138:139], -v[203:204]
	v_add_f64 v[203:204], v[203:204], v[138:139]
	v_add_f64 v[207:208], v[205:206], v[190:191]
	v_add_f64 v[216:217], v[88:89], v[52:53]
	v_add_f64 v[52:53], v[52:53], -v[88:89]
	v_lshrrev_b32_e32 v88, 2, v177
	v_mul_u32_u24_e32 v88, 28, v88
	v_or_b32_e32 v88, v88, v200
	v_lshl_add_u32 v88, v88, 3, 0
	ds_write2_b64 v88, v[8:9], v[10:11] offset1:4
	ds_write2_b64 v88, v[12:13], v[14:15] offset0:8 offset1:12
	ds_write2_b64 v88, v[16:17], v[18:19] offset0:16 offset1:20
	ds_write_b64 v88, v[20:21] offset:192
	v_lshrrev_b32_e32 v8, 2, v222
	v_mul_lo_u32 v8, v8, 28
	v_add_f64 v[190:191], v[190:191], -v[205:206]
	v_or_b32_e32 v8, v8, v200
	v_lshl_add_u32 v89, v8, 3, 0
	v_lshrrev_b32_e32 v8, 2, v211
	v_mul_lo_u32 v8, v8, 28
	ds_write2_b64 v89, v[22:23], v[24:25] offset1:4
	ds_write2_b64 v89, v[26:27], v[28:29] offset0:8 offset1:12
	ds_write2_b64 v89, v[30:31], v[32:33] offset0:16 offset1:20
	ds_write_b64 v89, v[34:35] offset:192
	v_or_b32_e32 v8, v8, v200
	v_lshl_add_u32 v138, v8, 3, 0
	v_lshrrev_b32_e32 v8, 2, v218
	v_mul_lo_u32 v8, v8, 28
	ds_write2_b64 v138, v[48:49], v[46:47] offset1:4
	ds_write2_b64 v138, v[50:51], v[54:55] offset0:8 offset1:12
	ds_write2_b64 v138, v[42:43], v[36:37] offset0:16 offset1:20
	ds_write_b64 v138, v[38:39] offset:192
	;; [unrolled: 8-line block ×3, first 2 shown]
	v_add_u32_e32 v151, 0x1400, v223
	v_or_b32_e32 v8, v8, v200
	v_lshl_add_u32 v150, v8, 3, 0
	ds_write2_b64 v150, v[209:210], v[207:208] offset1:4
	ds_write2_b64 v150, v[216:217], v[232:233] offset0:8 offset1:12
	ds_write2_b64 v150, v[203:204], v[52:53] offset0:16 offset1:20
	buffer_store_dword v190, off, s[36:39], 0 offset:104 ; 4-byte Folded Spill
	s_nop 0
	buffer_store_dword v191, off, s[36:39], 0 offset:108 ; 4-byte Folded Spill
	ds_write_b64 v150, v[190:191] offset:192
	s_waitcnt lgkmcnt(0)
	; wave barrier
	s_waitcnt lgkmcnt(0)
	ds_read_b64 v[240:241], v223
	ds_read2_b64 v[8:11], v199 offset0:84 offset1:140
	ds_read_b64 v[227:228], v2
	ds_read_b64 v[206:207], v3
	ds_read2_b64 v[12:15], v198 offset0:68 offset1:124
	ds_read_b64 v[16:17], v6
	s_waitcnt lgkmcnt(0)
	buffer_store_dword v16, off, s[36:39], 0 offset:112 ; 4-byte Folded Spill
	s_nop 0
	buffer_store_dword v17, off, s[36:39], 0 offset:116 ; 4-byte Folded Spill
	ds_read_b64 v[16:17], v7
	s_waitcnt lgkmcnt(0)
	buffer_store_dword v16, off, s[36:39], 0 offset:120 ; 4-byte Folded Spill
	s_nop 0
	buffer_store_dword v17, off, s[36:39], 0 offset:124 ; 4-byte Folded Spill
	ds_read2_b64 v[16:19], v198 offset0:180 offset1:236
	ds_read_b64 v[20:21], v224
	s_waitcnt lgkmcnt(0)
	buffer_store_dword v20, off, s[36:39], 0 offset:128 ; 4-byte Folded Spill
	s_nop 0
	buffer_store_dword v21, off, s[36:39], 0 offset:132 ; 4-byte Folded Spill
	v_lshl_add_u32 v20, v221, 3, 0
	buffer_store_dword v20, off, s[36:39], 0 offset:96 ; 4-byte Folded Spill
	ds_read_b64 v[20:21], v20
	s_waitcnt lgkmcnt(0)
	buffer_store_dword v20, off, s[36:39], 0 offset:136 ; 4-byte Folded Spill
	s_nop 0
	buffer_store_dword v21, off, s[36:39], 0 offset:140 ; 4-byte Folded Spill
	v_lshl_add_u32 v20, v235, 3, 0
	buffer_store_dword v20, off, s[36:39], 0 offset:92 ; 4-byte Folded Spill
	ds_read_b64 v[20:21], v20
	ds_read2_b64 v[28:31], v215 offset0:36 offset1:92
	s_waitcnt lgkmcnt(1)
	buffer_store_dword v20, off, s[36:39], 0 offset:144 ; 4-byte Folded Spill
	s_nop 0
	buffer_store_dword v21, off, s[36:39], 0 offset:148 ; 4-byte Folded Spill
	v_lshl_add_u32 v20, v176, 3, 0
	buffer_store_dword v20, off, s[36:39], 0 offset:100 ; 4-byte Folded Spill
	ds_read_b64 v[20:21], v20
	s_waitcnt lgkmcnt(0)
	buffer_store_dword v20, off, s[36:39], 0 offset:152 ; 4-byte Folded Spill
	s_nop 0
	buffer_store_dword v21, off, s[36:39], 0 offset:156 ; 4-byte Folded Spill
	ds_read2_b64 v[36:39], v215 offset0:148 offset1:204
	v_add_u32_e32 v215, 0xc00, v223
	ds_read2_b64 v[52:55], v215 offset0:120 offset1:176
	ds_read2_b64 v[32:35], v214 offset0:4 offset1:60
	;; [unrolled: 1-line block ×4, first 2 shown]
	v_add_u32_e32 v214, 0x3400, v223
	ds_read2_b64 v[44:47], v151 offset0:88 offset1:144
	ds_read2_b64 v[24:27], v214 offset0:100 offset1:156
	;; [unrolled: 1-line block ×3, first 2 shown]
	ds_read_b64 v[190:191], v223 offset:15008
	s_waitcnt lgkmcnt(0)
	buffer_store_dword v190, off, s[36:39], 0 offset:32 ; 4-byte Folded Spill
	s_nop 0
	buffer_store_dword v191, off, s[36:39], 0 offset:36 ; 4-byte Folded Spill
	s_and_saveexec_b64 s[28:29], s[0:1]
	s_cbranch_execz .LBB0_21
; %bb.20:
	ds_read_b64 v[190:191], v223 offset:7616
	s_waitcnt lgkmcnt(0)
	buffer_store_dword v190, off, s[36:39], 0 offset:104 ; 4-byte Folded Spill
	s_nop 0
	buffer_store_dword v191, off, s[36:39], 0 offset:108 ; 4-byte Folded Spill
	ds_read_b64 v[190:191], v223 offset:15456
	s_waitcnt lgkmcnt(0)
	buffer_store_dword v188, off, s[36:39], 0 offset:16 ; 4-byte Folded Spill
	s_nop 0
	buffer_store_dword v189, off, s[36:39], 0 offset:20 ; 4-byte Folded Spill
	buffer_store_dword v190, off, s[36:39], 0 offset:24 ; 4-byte Folded Spill
	buffer_store_dword v191, off, s[36:39], 0 offset:28 ; 4-byte Folded Spill
.LBB0_21:
	s_or_b64 exec, exec, s[28:29]
	v_add_f64 v[132:133], v[132:133], v[160:161]
	v_add_f64 v[134:135], v[134:135], v[156:157]
	v_add_f64 v[130:131], v[130:131], -v[154:155]
	v_add_f64 v[56:57], v[56:57], v[110:111]
	v_add_f64 v[110:111], v[136:137], -v[118:119]
	v_add_f64 v[118:119], v[128:129], -v[158:159]
	v_add_f64 v[144:145], v[144:145], v[164:165]
	v_add_f64 v[146:147], v[146:147], v[162:163]
	v_add_f64 v[106:107], v[106:107], -v[114:115]
	v_add_f64 v[128:129], v[134:135], v[132:133]
	v_add_f64 v[102:103], v[102:103], -v[148:149]
	v_add_f64 v[136:137], v[132:133], -v[56:57]
	;; [unrolled: 1-line block ×4, first 2 shown]
	v_add_f64 v[130:131], v[110:111], v[130:131]
	v_add_f64 v[110:111], v[118:119], -v[110:111]
	v_add_f64 v[132:133], v[134:135], -v[132:133]
	v_add_f64 v[128:129], v[56:57], v[128:129]
	v_add_f64 v[56:57], v[56:57], -v[134:135]
	v_mul_f64 v[136:137], v[136:137], s[4:5]
	v_mul_f64 v[154:155], v[154:155], s[10:11]
	;; [unrolled: 1-line block ×3, first 2 shown]
	v_add_f64 v[118:119], v[130:131], v[118:119]
	v_add_f64 v[114:115], v[140:141], -v[120:121]
	v_add_f64 v[104:105], v[104:105], v[182:183]
	v_add_f64 v[126:127], v[126:127], v[128:129]
	v_mul_f64 v[134:135], v[56:57], s[2:3]
	v_fma_f64 v[56:57], v[56:57], s[2:3], v[136:137]
	v_fma_f64 v[130:131], v[110:111], s[22:23], v[154:155]
	v_fma_f64 v[154:155], v[156:157], s[6:7], -v[154:155]
	v_fma_f64 v[110:111], v[110:111], s[26:27], -v[158:159]
	;; [unrolled: 1-line block ×3, first 2 shown]
	v_add_f64 v[108:109], v[108:109], v[174:175]
	v_fma_f64 v[128:129], v[128:129], s[16:17], v[126:127]
	v_fma_f64 v[132:133], v[132:133], s[18:19], -v[134:135]
	v_add_f64 v[134:135], v[142:143], v[152:153]
	v_add_f64 v[142:143], v[146:147], v[144:145]
	v_fma_f64 v[130:131], v[118:119], s[24:25], v[130:131]
	v_fma_f64 v[152:153], v[118:119], s[24:25], v[154:155]
	;; [unrolled: 1-line block ×3, first 2 shown]
	v_add_f64 v[96:97], v[96:97], v[166:167]
	v_add_f64 v[56:57], v[56:57], v[128:129]
	;; [unrolled: 1-line block ×4, first 2 shown]
	v_add_f64 v[120:121], v[144:145], -v[134:135]
	v_add_f64 v[132:133], v[134:135], v[142:143]
	v_add_f64 v[144:145], v[146:147], -v[144:145]
	v_add_f64 v[94:95], v[94:95], -v[168:169]
	;; [unrolled: 1-line block ×5, first 2 shown]
	v_add_f64 v[110:111], v[110:111], v[118:119]
	v_add_f64 v[56:57], v[130:131], v[56:57]
	v_add_f64 v[118:119], v[134:135], -v[146:147]
	v_add_f64 v[130:131], v[114:115], v[102:103]
	v_add_f64 v[134:135], v[114:115], -v[102:103]
	v_add_f64 v[102:103], v[102:103], -v[106:107]
	v_add_f64 v[124:125], v[124:125], v[132:133]
	v_mul_f64 v[120:121], v[120:121], s[4:5]
	v_add_f64 v[114:115], v[106:107], -v[114:115]
	v_add_f64 v[58:59], v[58:59], -v[116:117]
	v_mul_f64 v[146:147], v[118:119], s[2:3]
	v_add_f64 v[106:107], v[130:131], v[106:107]
	v_mul_f64 v[130:131], v[134:135], s[10:11]
	v_mul_f64 v[134:135], v[102:103], s[6:7]
	v_fma_f64 v[132:133], v[132:133], s[16:17], v[124:125]
	v_fma_f64 v[118:119], v[118:119], s[2:3], v[120:121]
	v_fma_f64 v[120:121], v[144:145], s[20:21], -v[120:121]
	v_add_f64 v[66:67], v[66:67], v[188:189]
	v_fma_f64 v[146:147], v[144:145], s[18:19], -v[146:147]
	v_add_f64 v[92:93], v[92:93], v[186:187]
	v_fma_f64 v[144:145], v[114:115], s[22:23], v[130:131]
	v_fma_f64 v[102:103], v[102:103], s[6:7], -v[130:131]
	v_fma_f64 v[114:115], v[114:115], s[26:27], -v[134:135]
	v_add_f64 v[130:131], v[108:109], v[104:105]
	v_add_f64 v[118:119], v[118:119], v[132:133]
	;; [unrolled: 1-line block ×4, first 2 shown]
	v_add_f64 v[132:133], v[94:95], -v[58:59]
	v_fma_f64 v[112:113], v[106:107], s[24:25], v[144:145]
	v_fma_f64 v[102:103], v[106:107], s[24:25], v[102:103]
	v_fma_f64 v[106:107], v[106:107], s[24:25], v[114:115]
	v_add_f64 v[116:117], v[96:97], v[130:131]
	v_add_f64 v[130:131], v[104:105], -v[96:97]
	v_add_f64 v[96:97], v[96:97], -v[108:109]
	;; [unrolled: 1-line block ×4, first 2 shown]
	v_add_f64 v[94:95], v[90:91], v[94:95]
	v_add_f64 v[90:91], v[58:59], -v[90:91]
	v_mul_f64 v[144:145], v[132:133], s[6:7]
	v_add_f64 v[108:109], v[122:123], v[116:117]
	v_mul_f64 v[122:123], v[130:131], s[4:5]
	v_mul_f64 v[130:131], v[96:97], s[2:3]
	;; [unrolled: 1-line block ×3, first 2 shown]
	v_add_f64 v[62:63], v[62:63], -v[180:181]
	v_add_f64 v[58:59], v[94:95], v[58:59]
	v_add_f64 v[78:79], v[172:173], -v[78:79]
	v_add_f64 v[146:147], v[118:119], -v[112:113]
	v_fma_f64 v[94:95], v[116:117], s[16:17], v[108:109]
	v_fma_f64 v[96:97], v[96:97], s[2:3], v[122:123]
	v_fma_f64 v[116:117], v[104:105], s[18:19], -v[130:131]
	v_fma_f64 v[104:105], v[104:105], s[20:21], -v[122:123]
	v_fma_f64 v[122:123], v[90:91], s[22:23], v[114:115]
	v_fma_f64 v[90:91], v[90:91], s[26:27], -v[144:145]
	v_fma_f64 v[114:115], v[132:133], s[6:7], -v[114:115]
	v_add_f64 v[130:131], v[120:121], -v[106:107]
	v_add_f64 v[106:107], v[106:107], v[120:121]
	v_add_f64 v[96:97], v[96:97], v[94:95]
	;; [unrolled: 1-line block ×4, first 2 shown]
	v_fma_f64 v[104:105], v[58:59], s[24:25], v[122:123]
	v_fma_f64 v[90:91], v[58:59], s[24:25], v[90:91]
	;; [unrolled: 1-line block ×3, first 2 shown]
	v_add_f64 v[120:121], v[170:171], v[178:179]
	v_add_f64 v[122:123], v[92:93], v[66:67]
	;; [unrolled: 1-line block ×3, first 2 shown]
	v_add_f64 v[60:61], v[60:61], -v[184:185]
	v_add_f64 v[80:81], v[80:81], v[86:87]
	v_add_f64 v[114:115], v[96:97], -v[104:105]
	v_add_f64 v[118:119], v[94:95], -v[90:91]
	v_add_f64 v[132:133], v[58:59], v[116:117]
	v_add_f64 v[58:59], v[116:117], -v[58:59]
	v_add_f64 v[90:91], v[90:91], v[94:95]
	v_add_f64 v[94:95], v[104:105], v[96:97]
	;; [unrolled: 1-line block ×3, first 2 shown]
	v_add_f64 v[104:105], v[66:67], -v[120:121]
	v_add_f64 v[116:117], v[120:121], -v[92:93]
	v_add_f64 v[120:121], v[78:79], v[62:63]
	v_add_f64 v[122:123], v[78:79], -v[62:63]
	v_add_f64 v[62:63], v[62:63], -v[60:61]
	;; [unrolled: 1-line block ×4, first 2 shown]
	v_add_f64 v[4:5], v[4:5], v[96:97]
	v_mul_f64 v[92:93], v[104:105], s[4:5]
	v_mul_f64 v[104:105], v[116:117], s[2:3]
	v_add_f64 v[60:61], v[120:121], v[60:61]
	v_mul_f64 v[120:121], v[122:123], s[10:11]
	v_add_f64 v[84:85], v[84:85], v[100:101]
	v_add_f64 v[76:77], v[76:77], v[98:99]
	v_add_f64 v[64:65], v[64:65], -v[70:71]
	v_fma_f64 v[86:87], v[96:97], s[16:17], v[4:5]
	v_fma_f64 v[96:97], v[116:117], s[2:3], v[92:93]
	v_fma_f64 v[100:101], v[66:67], s[18:19], -v[104:105]
	v_fma_f64 v[66:67], v[66:67], s[20:21], -v[92:93]
	v_fma_f64 v[92:93], v[78:79], s[22:23], v[120:121]
	v_add_f64 v[98:99], v[84:85], v[80:81]
	v_add_f64 v[70:71], v[74:75], -v[82:83]
	v_add_f64 v[68:69], v[68:69], -v[72:73]
	;; [unrolled: 1-line block ×3, first 2 shown]
	v_add_f64 v[96:97], v[96:97], v[86:87]
	v_add_f64 v[72:73], v[100:101], v[86:87]
	;; [unrolled: 1-line block ×3, first 2 shown]
	v_fma_f64 v[86:87], v[60:61], s[24:25], v[92:93]
	v_add_f64 v[74:75], v[76:77], v[98:99]
	v_add_f64 v[76:77], v[76:77], -v[84:85]
	v_add_f64 v[92:93], v[70:71], -v[64:65]
	;; [unrolled: 1-line block ×3, first 2 shown]
	v_mul_f64 v[122:123], v[62:63], s[6:7]
	v_add_f64 v[80:81], v[84:85], -v[80:81]
	v_add_f64 v[64:65], v[70:71], v[64:65]
	v_add_f64 v[70:71], v[68:69], -v[70:71]
	v_add_f64 v[84:85], v[0:1], v[74:75]
	v_mul_f64 v[0:1], v[82:83], s[4:5]
	v_mul_f64 v[82:83], v[76:77], s[2:3]
	;; [unrolled: 1-line block ×4, first 2 shown]
	v_fma_f64 v[62:63], v[62:63], s[6:7], -v[120:121]
	v_fma_f64 v[78:79], v[78:79], s[26:27], -v[122:123]
	v_add_f64 v[64:65], v[64:65], v[68:69]
	v_fma_f64 v[68:69], v[74:75], s[16:17], v[84:85]
	v_fma_f64 v[74:75], v[76:77], s[2:3], v[0:1]
	v_fma_f64 v[76:77], v[80:81], s[18:19], -v[82:83]
	v_fma_f64 v[0:1], v[80:81], s[20:21], -v[0:1]
	v_fma_f64 v[80:81], v[70:71], s[22:23], v[92:93]
	v_fma_f64 v[70:71], v[70:71], s[26:27], -v[100:101]
	v_fma_f64 v[62:63], v[60:61], s[24:25], v[62:63]
	;; [unrolled: 2-line block ×3, first 2 shown]
	v_add_f64 v[74:75], v[74:75], v[68:69]
	v_add_f64 v[76:77], v[76:77], v[68:69]
	;; [unrolled: 1-line block ×3, first 2 shown]
	v_fma_f64 v[68:69], v[64:65], s[24:25], v[80:81]
	v_fma_f64 v[70:71], v[64:65], s[24:25], v[70:71]
	v_add_f64 v[78:79], v[96:97], -v[86:87]
	v_fma_f64 v[64:65], v[64:65], s[24:25], v[82:83]
	v_add_f64 v[80:81], v[66:67], -v[60:61]
	v_add_f64 v[60:61], v[60:61], v[66:67]
	v_add_f64 v[66:67], v[86:87], v[96:97]
	;; [unrolled: 1-line block ×3, first 2 shown]
	v_add_f64 v[128:129], v[128:129], -v[152:153]
	v_add_f64 v[86:87], v[0:1], -v[70:71]
	v_add_f64 v[70:71], v[70:71], v[0:1]
	v_add_f64 v[0:1], v[68:69], v[74:75]
	;; [unrolled: 1-line block ×3, first 2 shown]
	v_add_f64 v[102:103], v[134:135], -v[102:103]
	v_add_f64 v[82:83], v[62:63], v[72:73]
	v_add_f64 v[62:63], v[72:73], -v[62:63]
	v_add_f64 v[72:73], v[74:75], -v[68:69]
	v_add_f64 v[92:93], v[64:65], v[76:77]
	v_add_f64 v[64:65], v[76:77], -v[64:65]
	s_waitcnt lgkmcnt(0)
	; wave barrier
	ds_write2_b64 v88, v[126:127], v[136:137] offset1:4
	ds_write2_b64 v88, v[140:141], v[142:143] offset0:8 offset1:12
	ds_write2_b64 v88, v[128:129], v[110:111] offset0:16 offset1:20
	ds_write_b64 v88, v[56:57] offset:192
	ds_write2_b64 v89, v[124:125], v[146:147] offset1:4
	ds_write2_b64 v89, v[130:131], v[144:145] offset0:8 offset1:12
	ds_write2_b64 v89, v[102:103], v[106:107] offset0:16 offset1:20
	ds_write_b64 v89, v[112:113] offset:192
	;; [unrolled: 4-line block ×4, first 2 shown]
	ds_write2_b64 v150, v[84:85], v[72:73] offset1:4
	ds_write2_b64 v150, v[86:87], v[92:93] offset0:8 offset1:12
	ds_write2_b64 v150, v[64:65], v[70:71] offset0:16 offset1:20
	buffer_store_dword v0, off, s[36:39], 0 offset:160 ; 4-byte Folded Spill
	s_nop 0
	buffer_store_dword v1, off, s[36:39], 0 offset:164 ; 4-byte Folded Spill
	v_add_u32_e32 v4, 0x1c00, v223
	v_add_u32_e32 v56, 0x2000, v223
	;; [unrolled: 1-line block ×5, first 2 shown]
	ds_write_b64 v150, v[0:1] offset:192
	s_waitcnt lgkmcnt(0)
	; wave barrier
	s_waitcnt lgkmcnt(0)
	ds_read_b64 v[212:213], v223
	ds_read2_b64 v[96:99], v4 offset0:84 offset1:140
	ds_read_b64 v[0:1], v3
	s_waitcnt lgkmcnt(0)
	buffer_store_dword v0, off, s[36:39], 0 offset:168 ; 4-byte Folded Spill
	s_nop 0
	buffer_store_dword v1, off, s[36:39], 0 offset:172 ; 4-byte Folded Spill
	ds_read2_b64 v[84:87], v56 offset0:68 offset1:124
	ds_read2_b64 v[88:91], v56 offset0:180 offset1:236
	v_add_u32_e32 v56, 0x2800, v223
	v_lshl_add_u32 v0, v221, 3, 0
	ds_read2_b64 v[92:95], v56 offset0:36 offset1:92
	ds_read_b64 v[182:183], v6
	ds_read_b64 v[184:185], v7
	;; [unrolled: 1-line block ×3, first 2 shown]
	s_waitcnt lgkmcnt(0)
	buffer_store_dword v0, off, s[36:39], 0 offset:176 ; 4-byte Folded Spill
	s_nop 0
	buffer_store_dword v1, off, s[36:39], 0 offset:180 ; 4-byte Folded Spill
	v_lshl_add_u32 v0, v235, 3, 0
	ds_read_b64 v[0:1], v0
	s_waitcnt lgkmcnt(0)
	buffer_store_dword v0, off, s[36:39], 0 offset:184 ; 4-byte Folded Spill
	s_nop 0
	buffer_store_dword v1, off, s[36:39], 0 offset:188 ; 4-byte Folded Spill
	buffer_store_dword v224, off, s[36:39], 0 offset:88 ; 4-byte Folded Spill
	v_lshl_add_u32 v0, v176, 3, 0
	ds_read_b64 v[188:189], v224
	ds_read_b64 v[186:187], v0
	ds_read2_b64 v[100:103], v56 offset0:148 offset1:204
	ds_read2_b64 v[56:59], v215 offset0:120 offset1:176
	;; [unrolled: 1-line block ×8, first 2 shown]
	ds_read_b64 v[214:215], v2
	ds_read_b64 v[216:217], v223 offset:15008
	s_and_saveexec_b64 s[2:3], s[0:1]
	s_cbranch_execz .LBB0_23
; %bb.22:
	ds_read_b64 v[0:1], v223 offset:7616
	s_waitcnt lgkmcnt(0)
	buffer_store_dword v0, off, s[36:39], 0 offset:160 ; 4-byte Folded Spill
	s_nop 0
	buffer_store_dword v1, off, s[36:39], 0 offset:164 ; 4-byte Folded Spill
	ds_read_b64 v[2:3], v223 offset:15456
	s_waitcnt lgkmcnt(0)
	buffer_store_dword v0, off, s[36:39], 0 ; 4-byte Folded Spill
	s_nop 0
	buffer_store_dword v1, off, s[36:39], 0 offset:4 ; 4-byte Folded Spill
	buffer_store_dword v2, off, s[36:39], 0 offset:8 ; 4-byte Folded Spill
	;; [unrolled: 1-line block ×3, first 2 shown]
.LBB0_23:
	s_or_b64 exec, exec, s[2:3]
	v_subrev_u32_e32 v104, 28, v177
	v_cndmask_b32_e64 v172, v104, v177, s[0:1]
	v_mov_b32_e32 v173, 0
	v_lshlrev_b64 v[104:105], 4, v[172:173]
	v_mov_b32_e32 v106, s9
	v_add_co_u32_e64 v104, s[2:3], s8, v104
	v_addc_co_u32_e64 v105, s[2:3], v106, v105, s[2:3]
	v_lshrrev_b16_e32 v106, 2, v222
	v_and_b32_e32 v106, 63, v106
	v_mul_lo_u16_e32 v225, 37, v106
	v_mov_b32_e32 v112, 28
	v_mul_lo_u16_sdwa v106, v225, v112 dst_sel:DWORD dst_unused:UNUSED_PAD src0_sel:BYTE_1 src1_sel:DWORD
	v_sub_u16_e32 v226, v222, v106
	v_mov_b32_e32 v113, 4
	buffer_store_dword v222, off, s[36:39], 0 offset:84 ; 4-byte Folded Spill
	v_lshlrev_b32_sdwa v108, v113, v226 dst_sel:DWORD dst_unused:UNUSED_PAD src0_sel:DWORD src1_sel:BYTE_0
	global_load_dwordx4 v[104:107], v[104:105], off offset:384
	s_nop 0
	global_load_dwordx4 v[108:111], v108, s[8:9] offset:384
	v_lshrrev_b16_e32 v114, 2, v211
	v_lshrrev_b16_e32 v115, 2, v218
	v_and_b32_e32 v114, 63, v114
	v_and_b32_e32 v115, 63, v115
	v_mul_lo_u16_e32 v229, 37, v114
	v_mul_lo_u16_e32 v181, 37, v115
	v_mul_lo_u16_sdwa v114, v229, v112 dst_sel:DWORD dst_unused:UNUSED_PAD src0_sel:BYTE_1 src1_sel:DWORD
	v_mul_lo_u16_sdwa v112, v181, v112 dst_sel:DWORD dst_unused:UNUSED_PAD src0_sel:BYTE_1 src1_sel:DWORD
	v_lshrrev_b16_e32 v120, 2, v219
	v_sub_u16_e32 v3, v218, v112
	v_mul_u32_u24_e32 v120, 0x4925, v120
	v_add_u32_e32 v1, 0x230, v177
	v_sub_u16_e32 v230, v211, v114
	buffer_store_dword v3, off, s[36:39], 0 offset:192 ; 4-byte Folded Spill
	v_lshlrev_b32_sdwa v116, v113, v3 dst_sel:DWORD dst_unused:UNUSED_PAD src0_sel:DWORD src1_sel:BYTE_0
	v_lshrrev_b32_e32 v3, 17, v120
	v_add_u32_e32 v2, 0x1f8, v177
	buffer_store_dword v211, off, s[36:39], 0 offset:52 ; 4-byte Folded Spill
	v_lshlrev_b32_sdwa v114, v113, v230 dst_sel:DWORD dst_unused:UNUSED_PAD src0_sel:DWORD src1_sel:BYTE_0
	buffer_store_dword v218, off, s[36:39], 0 offset:56 ; 4-byte Folded Spill
	v_mul_lo_u16_e32 v120, 28, v3
	v_lshrrev_b16_e32 v121, 2, v220
	v_lshrrev_b16_e32 v132, 2, v1
	global_load_dwordx4 v[112:115], v114, s[8:9] offset:384
	s_nop 0
	global_load_dwordx4 v[116:119], v116, s[8:9] offset:384
	v_mul_u32_u24_e32 v121, 0x4925, v121
	buffer_store_dword v3, off, s[36:39], 0 offset:196 ; 4-byte Folded Spill
	v_sub_u16_e32 v3, v219, v120
	v_lshrrev_b16_e32 v128, 2, v2
	v_mul_u32_u24_e32 v132, 0x4925, v132
	v_add_u16_e32 v133, 0x268, v177
	buffer_store_dword v3, off, s[36:39], 0 offset:200 ; 4-byte Folded Spill
	v_lshlrev_b32_e32 v120, 4, v3
	v_lshrrev_b32_e32 v3, 17, v121
	v_mul_u32_u24_e32 v128, 0x4925, v128
	v_lshrrev_b32_e32 v224, 17, v132
	v_lshrrev_b16_e32 v134, 2, v133
	buffer_store_dword v3, off, s[36:39], 0 offset:204 ; 4-byte Folded Spill
	v_mul_lo_u16_e32 v121, 28, v3
	v_lshrrev_b32_e32 v242, 17, v128
	v_mul_lo_u16_e32 v3, 28, v224
	v_mul_u32_u24_e32 v134, 0x4925, v134
	v_mul_lo_u16_e32 v128, 28, v242
	v_sub_u16_e32 v222, v1, v3
	v_lshrrev_b32_e32 v3, 17, v134
	v_sub_u16_e32 v255, v220, v121
	v_sub_u16_e32 v231, v2, v128
	v_mul_lo_u16_e32 v7, 28, v3
	buffer_store_dword v219, off, s[36:39], 0 offset:60 ; 4-byte Folded Spill
	buffer_store_dword v220, off, s[36:39], 0 offset:64 ; 4-byte Folded Spill
	v_lshlrev_b32_e32 v124, 4, v255
	v_lshlrev_b32_e32 v128, 4, v231
	v_sub_u16_e32 v7, v133, v7
	global_load_dwordx4 v[120:123], v120, s[8:9] offset:384
	s_nop 0
	global_load_dwordx4 v[124:127], v124, s[8:9] offset:384
	v_lshlrev_b32_e32 v132, 4, v222
	buffer_store_dword v2, off, s[36:39], 0 offset:220 ; 4-byte Folded Spill
	global_load_dwordx4 v[128:131], v128, s[8:9] offset:384
	v_lshlrev_b32_e32 v136, 4, v7
	buffer_store_dword v1, off, s[36:39], 0 offset:216 ; 4-byte Folded Spill
	global_load_dwordx4 v[132:135], v132, s[8:9] offset:384
	s_nop 0
	global_load_dwordx4 v[136:139], v136, s[8:9] offset:384
	v_add_u32_e32 v0, 0x2a0, v177
	v_lshrrev_b16_e32 v140, 2, v0
	v_mul_u32_u24_e32 v140, 0x4925, v140
	v_lshrrev_b32_e32 v6, 17, v140
	v_mul_lo_u16_e32 v140, 28, v6
	buffer_store_dword v0, off, s[36:39], 0 offset:212 ; 4-byte Folded Spill
	v_sub_u16_e32 v2, v0, v140
	v_add_u32_e32 v0, 0x348, v177
	v_lshrrev_b16_e32 v149, 2, v0
	v_mul_u32_u24_e32 v149, 0x4925, v149
	v_add_u16_e32 v141, 0x2d8, v177
	v_add_u32_e32 v1, 0x310, v177
	v_lshrrev_b32_e32 v205, 17, v149
	v_lshrrev_b16_e32 v142, 2, v141
	v_lshrrev_b16_e32 v148, 2, v1
	v_mul_lo_u16_e32 v149, 28, v205
	v_lshrrev_b16_e32 v156, 2, v221
	v_mov_b32_e32 v175, v177
	v_mul_u32_u24_e32 v142, 0x4925, v142
	s_waitcnt vmcnt(19)
	v_mul_f64 v[173:174], v[96:97], v[106:107]
	s_waitcnt vmcnt(18)
	v_mul_f64 v[243:244], v[98:99], v[110:111]
	v_mul_u32_u24_e32 v148, 0x4925, v148
	buffer_store_dword v0, off, s[36:39], 0 offset:232 ; 4-byte Folded Spill
	v_sub_u16_e32 v209, v0, v149
	v_mul_u32_u24_e32 v156, 0x4925, v156
	v_or_b32_e32 v0, 0x380, v175
	v_lshrrev_b32_e32 v218, 17, v142
	v_fma_f64 v[173:174], v[8:9], v[104:105], v[173:174]
	v_fma_f64 v[243:244], v[10:11], v[108:109], v[243:244]
	v_lshrrev_b32_e32 v191, 17, v148
	v_lshrrev_b32_e32 v211, 17, v156
	v_lshrrev_b16_e32 v156, 2, v0
	v_mul_lo_u16_e32 v142, 28, v218
	v_mul_lo_u16_e32 v148, 28, v191
	v_mul_u32_u24_e32 v156, 0x4925, v156
	v_add_f64 v[236:237], v[240:241], -v[173:174]
	v_add_f64 v[243:244], v[227:228], -v[243:244]
	v_sub_u16_e32 v190, v141, v142
	v_sub_u16_e32 v204, v1, v148
	v_lshrrev_b32_e32 v4, 17, v156
	v_lshlrev_b32_e32 v140, 4, v2
	v_lshlrev_b32_e32 v144, 4, v190
	buffer_store_dword v1, off, s[36:39], 0 offset:236 ; 4-byte Folded Spill
	v_lshlrev_b32_e32 v148, 4, v204
	v_lshlrev_b32_e32 v152, 4, v209
	v_mul_lo_u16_e32 v156, 28, v4
	global_load_dwordx4 v[140:143], v140, s[8:9] offset:384
	v_sub_u16_e32 v219, v0, v156
	global_load_dwordx4 v[144:147], v144, s[8:9] offset:384
	s_nop 0
	global_load_dwordx4 v[148:151], v148, s[8:9] offset:384
	s_nop 0
	global_load_dwordx4 v[152:155], v152, s[8:9] offset:384
	v_lshlrev_b32_e32 v156, 4, v219
	buffer_store_dword v0, off, s[36:39], 0 offset:228 ; 4-byte Folded Spill
	v_add_u32_e32 v0, 0x3b8, v175
	v_lshrrev_b16_e32 v173, 2, v0
	v_fma_f64 v[240:241], v[240:241], 2.0, -v[236:237]
	v_fma_f64 v[227:228], v[227:228], 2.0, -v[243:244]
	global_load_dwordx4 v[156:159], v156, s[8:9] offset:384
	v_mul_u32_u24_e32 v173, 0x4925, v173
	v_lshrrev_b16_e32 v164, 2, v235
	v_lshrrev_b16_e32 v168, 2, v176
	v_lshrrev_b32_e32 v173, 17, v173
	v_mul_lo_u16_e32 v160, 28, v211
	v_mul_u32_u24_e32 v164, 0x4925, v164
	v_mul_u32_u24_e32 v168, 0x4925, v168
	v_mul_lo_u16_e32 v173, 28, v173
	buffer_store_dword v221, off, s[36:39], 0 offset:68 ; 4-byte Folded Spill
	v_sub_u16_e32 v220, v221, v160
	v_lshrrev_b32_e32 v221, 17, v164
	v_lshrrev_b32_e32 v192, 17, v168
	buffer_store_dword v0, off, s[36:39], 0 offset:224 ; 4-byte Folded Spill
	v_sub_u16_e32 v0, v0, v173
	v_mov_b32_e32 v173, 0x1c0
	v_cmp_lt_u32_e64 s[2:3], 27, v175
	v_mul_lo_u16_e32 v164, 28, v221
	v_mul_lo_u16_e32 v168, 28, v192
	v_lshlrev_b32_e32 v1, 4, v0
	v_cndmask_b32_e64 v173, 0, v173, s[2:3]
	v_lshlrev_b32_e32 v172, 3, v172
	s_movk_i32 s2, 0x1c0
	v_mov_b32_e32 v178, 3
	v_sub_u16_e32 v5, v235, v164
	v_sub_u16_e32 v193, v176, v168
	buffer_store_dword v175, off, s[36:39], 0 offset:40 ; 4-byte Folded Spill
	v_add3_u32 v210, 0, v173, v172
	global_load_dwordx4 v[172:175], v1, s[8:9] offset:384
	v_mul_u32_u24_sdwa v1, v225, s2 dst_sel:DWORD dst_unused:UNUSED_PAD src0_sel:BYTE_1 src1_sel:DWORD
	v_lshlrev_b32_sdwa v179, v178, v226 dst_sel:DWORD dst_unused:UNUSED_PAD src0_sel:DWORD src1_sel:BYTE_0
	v_lshlrev_b32_e32 v160, 4, v220
	v_lshlrev_b32_e32 v164, 4, v5
	;; [unrolled: 1-line block ×3, first 2 shown]
	v_add3_u32 v208, 0, v1, v179
	global_load_dwordx4 v[160:163], v160, s[8:9] offset:384
	s_waitcnt vmcnt(17) lgkmcnt(9)
	v_mul_f64 v[253:254], v[102:103], v[130:131]
	global_load_dwordx4 v[164:167], v164, s[8:9] offset:384
	s_waitcnt vmcnt(16) lgkmcnt(7)
	v_mul_f64 v[176:177], v[72:73], v[134:135]
	global_load_dwordx4 v[168:171], v168, s[8:9] offset:384
	s_waitcnt lgkmcnt(0)
	; wave barrier
	s_waitcnt lgkmcnt(0)
	ds_write2_b64 v210, v[240:241], v[236:237] offset1:28
	ds_write2_b64 v208, v[227:228], v[243:244] offset1:28
	buffer_load_dword v194, off, s[36:39], 0 offset:32 ; 4-byte Folded Reload
	buffer_load_dword v195, off, s[36:39], 0 offset:36 ; 4-byte Folded Reload
	v_mul_f64 v[245:246], v[84:85], v[114:115]
	v_fma_f64 v[253:254], v[38:39], v[128:129], v[253:254]
	v_fma_f64 v[176:177], v[32:33], v[132:133], v[176:177]
	v_mul_u32_u24_sdwa v1, v229, s2 dst_sel:DWORD dst_unused:UNUSED_PAD src0_sel:BYTE_1 src1_sel:DWORD
	v_mul_f64 v[247:248], v[86:87], v[118:119]
	v_mul_f64 v[249:250], v[88:89], v[122:123]
	;; [unrolled: 1-line block ×3, first 2 shown]
	s_waitcnt vmcnt(18)
	v_mul_f64 v[232:233], v[74:75], v[138:139]
	v_fma_f64 v[245:246], v[12:13], v[112:113], v[245:246]
	v_add_f64 v[253:254], v[52:53], -v[253:254]
	v_add_f64 v[176:177], v[54:55], -v[176:177]
	v_lshlrev_b32_e32 v5, 3, v5
	v_lshlrev_b32_e32 v2, 3, v2
	v_fma_f64 v[232:233], v[34:35], v[136:137], v[232:233]
	v_fma_f64 v[243:244], v[52:53], 2.0, -v[253:254]
	v_fma_f64 v[225:226], v[54:55], 2.0, -v[176:177]
	v_add_f64 v[53:54], v[206:207], -v[245:246]
	v_lshlrev_b32_sdwa v52, v178, v230 dst_sel:DWORD dst_unused:UNUSED_PAD src0_sel:DWORD src1_sel:BYTE_0
	v_add3_u32 v52, 0, v1, v52
	v_mul_u32_u24_sdwa v1, v181, s2 dst_sel:DWORD dst_unused:UNUSED_PAD src0_sel:BYTE_1 src1_sel:DWORD
	v_add_f64 v[232:233], v[48:49], -v[232:233]
	s_waitcnt vmcnt(14)
	v_mul_f64 v[234:235], v[76:77], v[142:143]
	v_fma_f64 v[206:207], v[206:207], 2.0, -v[53:54]
	s_waitcnt vmcnt(13)
	v_mul_f64 v[238:239], v[78:79], v[146:147]
	s_waitcnt vmcnt(12)
	v_mul_f64 v[236:237], v[80:81], v[150:151]
	;; [unrolled: 2-line block ×3, first 2 shown]
	v_fma_f64 v[48:49], v[48:49], 2.0, -v[232:233]
	v_fma_f64 v[234:235], v[20:21], v[140:141], v[234:235]
	s_waitcnt vmcnt(9)
	v_mul_f64 v[227:228], v[216:217], v[158:159]
	ds_write2_b64 v52, v[206:207], v[53:54] offset1:28
	v_fma_f64 v[206:207], v[14:15], v[116:117], v[247:248]
	v_fma_f64 v[247:248], v[16:17], v[120:121], v[249:250]
	;; [unrolled: 1-line block ×6, first 2 shown]
	v_add_f64 v[234:235], v[50:51], -v[234:235]
	v_add_f64 v[238:239], v[44:45], -v[238:239]
	;; [unrolled: 1-line block ×4, first 2 shown]
	v_fma_f64 v[50:51], v[50:51], 2.0, -v[234:235]
	v_fma_f64 v[44:45], v[44:45], 2.0, -v[238:239]
	;; [unrolled: 1-line block ×4, first 2 shown]
	s_waitcnt vmcnt(4)
	v_mul_f64 v[245:246], v[92:93], v[162:163]
	s_waitcnt vmcnt(3)
	v_mul_f64 v[229:230], v[94:95], v[166:167]
	;; [unrolled: 2-line block ×3, first 2 shown]
	v_fma_f64 v[245:246], v[28:29], v[160:161], v[245:246]
	s_waitcnt vmcnt(0)
	v_fma_f64 v[227:228], v[194:195], v[156:157], v[227:228]
	buffer_load_dword v194, off, s[36:39], 0 offset:112 ; 4-byte Folded Reload
	buffer_load_dword v195, off, s[36:39], 0 offset:116 ; 4-byte Folded Reload
	;; [unrolled: 1-line block ×12, first 2 shown]
	v_fma_f64 v[53:54], v[36:37], v[168:169], v[53:54]
	v_fma_f64 v[229:230], v[30:31], v[164:165], v[229:230]
	v_add_f64 v[227:228], v[42:43], -v[227:228]
	v_fma_f64 v[42:43], v[42:43], 2.0, -v[227:228]
	s_waitcnt vmcnt(10)
	v_add_f64 v[206:207], v[194:195], -v[206:207]
	s_waitcnt vmcnt(8)
	v_add_f64 v[247:248], v[196:197], -v[247:248]
	;; [unrolled: 2-line block ×6, first 2 shown]
	buffer_load_dword v53, off, s[36:39], 0 offset:192 ; 4-byte Folded Reload
	v_fma_f64 v[54:55], v[194:195], 2.0, -v[206:207]
	v_fma_f64 v[194:195], v[196:197], 2.0, -v[247:248]
	;; [unrolled: 1-line block ×6, first 2 shown]
	s_waitcnt vmcnt(0)
	v_lshlrev_b32_sdwa v53, v178, v53 dst_sel:DWORD dst_unused:UNUSED_PAD src0_sel:DWORD src1_sel:BYTE_0
	v_add3_u32 v53, 0, v1, v53
	ds_write2_b64 v53, v[54:55], v[206:207] offset1:28
	buffer_load_dword v1, off, s[36:39], 0 offset:196 ; 4-byte Folded Reload
	buffer_load_dword v54, off, s[36:39], 0 offset:200 ; 4-byte Folded Reload
	v_lshlrev_b32_e32 v55, 3, v255
	v_lshlrev_b32_e32 v178, 3, v220
	s_waitcnt vmcnt(1)
	v_mul_u32_u24_e32 v1, 0x1c0, v1
	s_waitcnt vmcnt(0)
	v_lshlrev_b32_e32 v54, 3, v54
	v_add3_u32 v54, 0, v1, v54
	buffer_load_dword v1, off, s[36:39], 0 offset:204 ; 4-byte Folded Reload
	ds_write2_b64 v54, v[194:195], v[247:248] offset1:28
	s_waitcnt vmcnt(0)
	v_mul_u32_u24_e32 v1, 0x1c0, v1
	v_add3_u32 v55, 0, v1, v55
	v_mul_u32_u24_e32 v1, 0x1c0, v211
	v_add3_u32 v194, 0, v1, v178
	;; [unrolled: 2-line block ×3, first 2 shown]
	v_mul_u32_u24_e32 v1, 0x1c0, v192
	v_lshlrev_b32_e32 v5, 3, v193
	ds_write2_b64 v55, v[196:197], v[249:250] offset1:28
	v_add3_u32 v196, 0, v1, v5
	v_mul_u32_u24_e32 v1, 0x1c0, v242
	v_lshlrev_b32_e32 v5, 3, v231
	v_add3_u32 v197, 0, v1, v5
	v_mul_u32_u24_e32 v1, 0x1c0, v224
	v_lshlrev_b32_e32 v5, 3, v222
	ds_write2_b64 v194, v[198:199], v[245:246] offset1:28
	v_add3_u32 v198, 0, v1, v5
	v_mul_u32_u24_e32 v1, 0x1c0, v3
	v_lshlrev_b32_e32 v3, 3, v7
	v_add3_u32 v199, 0, v1, v3
	v_mul_u32_u24_e32 v1, 0x1c0, v6
	ds_write2_b64 v195, v[200:201], v[229:230] offset1:28
	v_add3_u32 v200, 0, v1, v2
	v_mul_u32_u24_e32 v1, 0x1c0, v218
	v_lshlrev_b32_e32 v2, 3, v190
	v_add3_u32 v201, 0, v1, v2
	v_mul_u32_u24_e32 v1, 0x1c0, v191
	v_lshlrev_b32_e32 v2, 3, v204
	ds_write2_b64 v196, v[202:203], v[251:252] offset1:28
	v_add3_u32 v203, 0, v1, v2
	v_mul_u32_u24_e32 v1, 0x1c0, v205
	v_lshlrev_b32_e32 v2, 3, v209
	v_add3_u32 v204, 0, v1, v2
	v_mul_u32_u24_e32 v1, 0x1c0, v4
	v_lshlrev_b32_e32 v2, 3, v219
	v_add3_u32 v205, 0, v1, v2
	v_lshl_add_u32 v202, v0, 3, 0
	ds_write2_b64 v197, v[243:244], v[253:254] offset1:28
	ds_write2_b64 v198, v[225:226], v[176:177] offset1:28
	;; [unrolled: 1-line block ×8, first 2 shown]
	s_and_saveexec_b64 s[2:3], s[0:1]
	s_cbranch_execz .LBB0_25
; %bb.24:
	buffer_load_dword v0, off, s[36:39], 0  ; 4-byte Folded Reload
	buffer_load_dword v1, off, s[36:39], 0 offset:4 ; 4-byte Folded Reload
	buffer_load_dword v2, off, s[36:39], 0 offset:8 ; 4-byte Folded Reload
	;; [unrolled: 1-line block ×3, first 2 shown]
	s_waitcnt vmcnt(0)
	v_mul_f64 v[40:41], v[2:3], v[174:175]
	buffer_load_dword v0, off, s[36:39], 0 offset:16 ; 4-byte Folded Reload
	buffer_load_dword v1, off, s[36:39], 0 offset:20 ; 4-byte Folded Reload
	;; [unrolled: 1-line block ×6, first 2 shown]
	s_waitcnt vmcnt(2)
	v_fma_f64 v[40:41], v[2:3], v[172:173], v[40:41]
	s_waitcnt vmcnt(0)
	v_add_f64 v[40:41], v[0:1], -v[40:41]
	v_fma_f64 v[42:43], v[0:1], 2.0, -v[40:41]
	v_add_u32_e32 v0, 0x3800, v202
	ds_write2_b64 v0, v[42:43], v[40:41] offset0:112 offset1:140
.LBB0_25:
	s_or_b64 exec, exec, s[2:3]
	buffer_load_dword v0, off, s[36:39], 0 offset:32 ; 4-byte Folded Reload
	buffer_load_dword v1, off, s[36:39], 0 offset:36 ; 4-byte Folded Reload
	v_mul_f64 v[8:9], v[8:9], v[106:107]
	v_mul_f64 v[18:19], v[18:19], v[126:127]
	;; [unrolled: 1-line block ×8, first 2 shown]
	v_fma_f64 v[8:9], v[96:97], v[104:105], -v[8:9]
	v_mul_f64 v[14:15], v[14:15], v[118:119]
	v_mul_f64 v[16:17], v[16:17], v[122:123]
	v_fma_f64 v[18:19], v[90:91], v[124:125], -v[18:19]
	v_mul_f64 v[20:21], v[20:21], v[142:143]
	v_fma_f64 v[22:23], v[78:79], v[144:145], -v[22:23]
	v_fma_f64 v[24:25], v[80:81], v[148:149], -v[24:25]
	;; [unrolled: 1-line block ×3, first 2 shown]
	v_add_f64 v[90:91], v[212:213], -v[8:9]
	v_fma_f64 v[8:9], v[72:73], v[132:133], -v[32:33]
	v_fma_f64 v[32:33], v[74:75], v[136:137], -v[34:35]
	v_mul_f64 v[38:39], v[38:39], v[130:131]
	v_fma_f64 v[12:13], v[84:85], v[112:113], -v[12:13]
	v_fma_f64 v[14:15], v[86:87], v[116:117], -v[14:15]
	;; [unrolled: 1-line block ×4, first 2 shown]
	v_add_f64 v[136:137], v[64:65], -v[22:23]
	v_add_f64 v[138:139], v[66:67], -v[24:25]
	;; [unrolled: 1-line block ×3, first 2 shown]
	v_add_u32_e32 v146, 0x1000, v223
	v_add_u32_e32 v150, 0x1800, v223
	;; [unrolled: 1-line block ×6, first 2 shown]
	v_mul_f64 v[10:11], v[10:11], v[110:111]
	v_fma_f64 v[38:39], v[102:103], v[128:129], -v[38:39]
	v_add_f64 v[106:107], v[182:183], -v[14:15]
	v_add_f64 v[110:111], v[184:185], -v[16:17]
	;; [unrolled: 1-line block ×3, first 2 shown]
	v_fma_f64 v[142:143], v[64:65], 2.0, -v[136:137]
	v_fma_f64 v[144:145], v[66:67], 2.0, -v[138:139]
	;; [unrolled: 1-line block ×3, first 2 shown]
	v_mul_f64 v[28:29], v[28:29], v[162:163]
	v_fma_f64 v[10:11], v[98:99], v[108:109], -v[10:11]
	v_add_f64 v[132:133], v[60:61], -v[32:33]
	v_add_u32_e32 v32, 0x2400, v223
	v_add_u32_e32 v151, 0x3800, v223
	;; [unrolled: 1-line block ×3, first 2 shown]
	v_add_f64 v[130:131], v[58:59], -v[8:9]
	v_add_f64 v[134:135], v[62:63], -v[20:21]
	v_fma_f64 v[28:29], v[92:93], v[160:161], -v[28:29]
	v_add_f64 v[98:99], v[214:215], -v[10:11]
	v_mul_f64 v[30:31], v[30:31], v[166:167]
	v_mul_f64 v[36:37], v[36:37], v[170:171]
	v_add_f64 v[38:39], v[56:57], -v[38:39]
	v_fma_f64 v[118:119], v[182:183], 2.0, -v[106:107]
	v_fma_f64 v[120:121], v[184:185], 2.0, -v[110:111]
	;; [unrolled: 1-line block ×5, first 2 shown]
	v_fma_f64 v[30:31], v[94:95], v[164:165], -v[30:31]
	v_fma_f64 v[36:37], v[100:101], v[168:169], -v[36:37]
	v_fma_f64 v[94:95], v[212:213], 2.0, -v[90:91]
	v_fma_f64 v[56:57], v[56:57], 2.0, -v[38:39]
	;; [unrolled: 1-line block ×4, first 2 shown]
	v_add_f64 v[36:37], v[186:187], -v[36:37]
	v_fma_f64 v[128:129], v[186:187], 2.0, -v[36:37]
	s_waitcnt vmcnt(0)
	v_mul_f64 v[40:41], v[0:1], v[158:159]
	buffer_load_dword v0, off, s[36:39], 0 offset:168 ; 4-byte Folded Reload
	buffer_load_dword v1, off, s[36:39], 0 offset:172 ; 4-byte Folded Reload
	;; [unrolled: 1-line block ×6, first 2 shown]
	s_waitcnt lgkmcnt(0)
	; wave barrier
	s_waitcnt lgkmcnt(0)
	ds_read_b64 v[104:105], v223
	ds_read2_b64 v[84:87], v146 offset0:48 offset1:104
	v_fma_f64 v[34:35], v[216:217], v[156:157], -v[40:41]
	ds_read2_b64 v[16:19], v150 offset0:16 offset1:72
	ds_read2_b64 v[80:83], v148 offset0:96 offset1:152
	;; [unrolled: 1-line block ×3, first 2 shown]
	v_add_f64 v[34:35], v[70:71], -v[34:35]
	v_fma_f64 v[155:156], v[70:71], 2.0, -v[34:35]
	s_waitcnt vmcnt(4)
	v_add_f64 v[102:103], v[0:1], -v[12:13]
	ds_read2_b64 v[12:15], v149 offset0:64 offset1:120
	ds_read2_b64 v[72:75], v147 offset0:80 offset1:136
	ds_read2_b64 v[68:71], v150 offset0:128 offset1:184
	ds_read2_b64 v[64:67], v149 offset0:176 offset1:232
	buffer_load_dword v176, off, s[36:39], 0 offset:72 ; 4-byte Folded Reload
	s_waitcnt vmcnt(3)
	v_add_f64 v[28:29], v[2:3], -v[28:29]
	s_waitcnt vmcnt(1)
	v_add_f64 v[30:31], v[6:7], -v[30:31]
	s_waitcnt vmcnt(0)
	ds_read_b64 v[96:97], v176
	ds_read2_b64 v[48:51], v146 offset0:160 offset1:216
	buffer_load_dword v177, off, s[36:39], 0 offset:76 ; 4-byte Folded Reload
	ds_read2_b64 v[44:47], v32 offset0:80 offset1:136
	ds_read2_b64 v[40:43], v151 offset1:56
	v_fma_f64 v[4:5], v[0:1], 2.0, -v[102:103]
	v_fma_f64 v[124:125], v[2:3], 2.0, -v[28:29]
	;; [unrolled: 1-line block ×3, first 2 shown]
	s_waitcnt vmcnt(0)
	ds_read_b64 v[92:93], v177
	ds_read2_b64 v[24:27], v147 offset0:192 offset1:248
	ds_read2_b64 v[20:23], v33 offset0:112 offset1:168
	;; [unrolled: 1-line block ×3, first 2 shown]
	buffer_load_dword v193, off, s[36:39], 0 offset:88 ; 4-byte Folded Reload
	buffer_load_dword v190, off, s[36:39], 0 offset:84 ; 4-byte Folded Reload
	buffer_load_dword v192, off, s[36:39], 0 offset:80 ; 4-byte Folded Reload
	s_waitcnt vmcnt(2)
	ds_read_b64 v[112:113], v193
	s_waitcnt vmcnt(1)
	v_lshl_add_u32 v191, v190, 3, 0
	s_waitcnt vmcnt(0)
	ds_read_b64 v[88:89], v192
	ds_read_b64 v[100:101], v191
	ds_read_b64 v[108:109], v223 offset:15232
	s_waitcnt lgkmcnt(0)
	; wave barrier
	s_waitcnt lgkmcnt(0)
	ds_write2_b64 v210, v[94:95], v[90:91] offset1:28
	ds_write2_b64 v208, v[116:117], v[98:99] offset1:28
	;; [unrolled: 1-line block ×17, first 2 shown]
	s_and_saveexec_b64 s[2:3], s[0:1]
	s_cbranch_execz .LBB0_27
; %bb.26:
	buffer_load_dword v0, off, s[36:39], 0 offset:16 ; 4-byte Folded Reload
	buffer_load_dword v1, off, s[36:39], 0 offset:20 ; 4-byte Folded Reload
	;; [unrolled: 1-line block ×4, first 2 shown]
	buffer_load_dword v4, off, s[36:39], 0  ; 4-byte Folded Reload
	buffer_load_dword v5, off, s[36:39], 0 offset:4 ; 4-byte Folded Reload
	buffer_load_dword v6, off, s[36:39], 0 offset:8 ; 4-byte Folded Reload
	;; [unrolled: 1-line block ×5, first 2 shown]
	s_waitcnt vmcnt(5)
	v_add_u32_e32 v4, 0x3800, v202
	v_mul_f64 v[2:3], v[2:3], v[174:175]
	s_waitcnt vmcnt(2)
	v_fma_f64 v[2:3], v[6:7], v[172:173], -v[2:3]
	s_waitcnt vmcnt(0)
	v_add_f64 v[2:3], v[0:1], -v[2:3]
	v_fma_f64 v[0:1], v[0:1], 2.0, -v[2:3]
	ds_write2_b64 v4, v[0:1], v[2:3] offset0:112 offset1:140
.LBB0_27:
	s_or_b64 exec, exec, s[2:3]
	s_waitcnt lgkmcnt(0)
	; wave barrier
	s_waitcnt lgkmcnt(0)
	ds_read_b64 v[106:107], v223
	ds_read_b64 v[120:121], v193
	ds_read2_b64 v[114:117], v146 offset0:48 offset1:104
	ds_read2_b64 v[28:31], v150 offset0:16 offset1:72
	;; [unrolled: 1-line block ×5, first 2 shown]
	ds_read_b64 v[102:103], v191
	ds_read2_b64 v[153:156], v147 offset0:80 offset1:136
	ds_read2_b64 v[157:160], v150 offset0:128 offset1:184
	;; [unrolled: 1-line block ×3, first 2 shown]
	ds_read_b64 v[98:99], v176
	ds_read2_b64 v[60:63], v146 offset0:160 offset1:216
	ds_read2_b64 v[56:59], v32 offset0:80 offset1:136
	ds_read2_b64 v[52:55], v151 offset1:56
	ds_read_b64 v[94:95], v177
	ds_read2_b64 v[36:39], v147 offset0:192 offset1:248
	ds_read2_b64 v[32:35], v33 offset0:112 offset1:168
	;; [unrolled: 1-line block ×3, first 2 shown]
	ds_read_b64 v[90:91], v192
	ds_read_b64 v[110:111], v223 offset:15232
	buffer_load_dword v196, off, s[36:39], 0 offset:40 ; 4-byte Folded Reload
	s_mov_b32 s2, 0x37e14327
	s_mov_b32 s0, 0x36b3c0b5
	;; [unrolled: 1-line block ×15, first 2 shown]
	s_waitcnt vmcnt(0)
	v_mul_u32_u24_e32 v118, 6, v196
	v_lshlrev_b32_e32 v136, 4, v118
	global_load_dwordx4 v[165:168], v136, s[8:9] offset:880
	global_load_dwordx4 v[169:172], v136, s[8:9] offset:864
	;; [unrolled: 1-line block ×4, first 2 shown]
	s_waitcnt vmcnt(0) lgkmcnt(14)
	v_mul_f64 v[118:119], v[120:121], v[184:185]
	v_fma_f64 v[118:119], v[112:113], v[182:183], v[118:119]
	v_mul_f64 v[112:113], v[112:113], v[184:185]
	v_fma_f64 v[124:125], v[120:121], v[182:183], -v[112:113]
	v_mul_f64 v[112:113], v[114:115], v[180:181]
	v_fma_f64 v[120:121], v[84:85], v[178:179], v[112:113]
	v_mul_f64 v[84:85], v[84:85], v[180:181]
	v_fma_f64 v[126:127], v[114:115], v[178:179], -v[84:85]
	global_load_dwordx4 v[112:115], v136, s[8:9] offset:912
	global_load_dwordx4 v[186:189], v136, s[8:9] offset:896
	v_mul_f64 v[84:85], v[30:31], v[171:172]
	buffer_load_dword v173, off, s[36:39], 0 offset:52 ; 4-byte Folded Reload
	v_fma_f64 v[122:123], v[18:19], v[169:170], v[84:85]
	v_mul_f64 v[18:19], v[18:19], v[171:172]
	v_fma_f64 v[128:129], v[30:31], v[169:170], -v[18:19]
	v_mul_f64 v[18:19], v[132:133], v[167:168]
	v_fma_f64 v[130:131], v[80:81], v[165:166], v[18:19]
	v_mul_f64 v[18:19], v[80:81], v[167:168]
	v_mul_f64 v[80:81], v[82:83], v[167:168]
	v_fma_f64 v[132:133], v[132:133], v[165:166], -v[18:19]
	v_fma_f64 v[80:81], v[134:135], v[165:166], -v[80:81]
	s_waitcnt vmcnt(2)
	v_mul_f64 v[84:85], v[144:145], v[114:115]
	s_waitcnt vmcnt(1)
	v_mul_f64 v[18:19], v[6:7], v[188:189]
	v_fma_f64 v[84:85], v[78:79], v[112:113], v[84:85]
	v_fma_f64 v[136:137], v[14:15], v[186:187], v[18:19]
	v_mul_f64 v[14:15], v[14:15], v[188:189]
	v_mul_f64 v[18:19], v[86:87], v[180:181]
	;; [unrolled: 1-line block ×3, first 2 shown]
	v_fma_f64 v[138:139], v[6:7], v[186:187], -v[14:15]
	v_mul_f64 v[6:7], v[142:143], v[114:115]
	v_mul_f64 v[14:15], v[72:73], v[184:185]
	v_fma_f64 v[78:79], v[144:145], v[112:113], -v[78:79]
	v_mov_b32_e32 v144, 56
	v_fma_f64 v[140:141], v[76:77], v[112:113], v[6:7]
	v_mul_f64 v[6:7], v[76:77], v[114:115]
	s_waitcnt lgkmcnt(12)
	v_fma_f64 v[30:31], v[153:154], v[182:183], -v[14:15]
	v_mul_f64 v[14:15], v[116:117], v[180:181]
	v_mul_f64 v[76:77], v[134:135], v[167:168]
	v_fma_f64 v[142:143], v[142:143], v[112:113], -v[6:7]
	v_mul_f64 v[6:7], v[153:154], v[184:185]
	v_fma_f64 v[14:15], v[86:87], v[178:179], v[14:15]
	s_waitcnt vmcnt(0)
	v_lshrrev_b16_e32 v86, 3, v173
	v_and_b32_e32 v86, 31, v86
	v_mul_lo_u16_e32 v86, 37, v86
	v_mul_lo_u16_sdwa v86, v86, v144 dst_sel:DWORD dst_unused:UNUSED_PAD src0_sel:BYTE_1 src1_sel:DWORD
	v_sub_u16_e32 v86, v173, v86
	v_and_b32_e32 v153, 0xff, v86
	v_fma_f64 v[6:7], v[72:73], v[182:183], v[6:7]
	v_fma_f64 v[72:73], v[116:117], v[178:179], -v[18:19]
	s_waitcnt lgkmcnt(11)
	v_mul_f64 v[18:19], v[157:158], v[171:172]
	v_mul_u32_u24_e32 v86, 6, v153
	v_lshlrev_b32_e32 v134, 4, v86
	v_fma_f64 v[76:77], v[82:83], v[165:166], v[76:77]
	s_waitcnt lgkmcnt(10)
	v_mul_f64 v[82:83], v[161:162], v[188:189]
	v_fma_f64 v[18:19], v[68:69], v[169:170], v[18:19]
	v_mul_f64 v[68:69], v[68:69], v[171:172]
	v_fma_f64 v[82:83], v[64:65], v[186:187], v[82:83]
	v_mul_f64 v[64:65], v[64:65], v[188:189]
	v_fma_f64 v[68:69], v[157:158], v[169:170], -v[68:69]
	global_load_dwordx4 v[165:168], v134, s[8:9] offset:880
	global_load_dwordx4 v[114:117], v134, s[8:9] offset:864
	;; [unrolled: 1-line block ×4, first 2 shown]
	v_fma_f64 v[64:65], v[161:162], v[186:187], -v[64:65]
	s_waitcnt vmcnt(0)
	v_mul_f64 v[86:87], v[155:156], v[180:181]
	v_fma_f64 v[86:87], v[74:75], v[178:179], v[86:87]
	v_mul_f64 v[74:75], v[74:75], v[180:181]
	v_fma_f64 v[112:113], v[155:156], v[178:179], -v[74:75]
	s_waitcnt lgkmcnt(8)
	v_mul_f64 v[74:75], v[60:61], v[171:172]
	v_fma_f64 v[74:75], v[48:49], v[169:170], v[74:75]
	v_mul_f64 v[48:49], v[48:49], v[171:172]
	v_fma_f64 v[60:61], v[60:61], v[169:170], -v[48:49]
	v_mul_f64 v[48:49], v[159:160], v[116:117]
	v_fma_f64 v[48:49], v[70:71], v[114:115], v[48:49]
	v_mul_f64 v[70:71], v[70:71], v[116:117]
	v_fma_f64 v[70:71], v[159:160], v[114:115], -v[70:71]
	global_load_dwordx4 v[154:157], v134, s[8:9] offset:912
	global_load_dwordx4 v[158:161], v134, s[8:9] offset:896
	buffer_load_dword v172, off, s[36:39], 0 offset:56 ; 4-byte Folded Reload
	s_waitcnt lgkmcnt(7)
	v_mul_f64 v[114:115], v[56:57], v[167:168]
	v_fma_f64 v[114:115], v[44:45], v[165:166], v[114:115]
	v_mul_f64 v[44:45], v[44:45], v[167:168]
	v_fma_f64 v[44:45], v[56:57], v[165:166], -v[44:45]
	s_waitcnt vmcnt(2) lgkmcnt(6)
	v_mul_f64 v[116:117], v[52:53], v[156:157]
	s_waitcnt vmcnt(1)
	v_mul_f64 v[56:57], v[163:164], v[160:161]
	v_fma_f64 v[116:117], v[40:41], v[154:155], v[116:117]
	v_mul_f64 v[40:41], v[40:41], v[156:157]
	v_fma_f64 v[56:57], v[66:67], v[158:159], v[56:57]
	v_mul_f64 v[66:67], v[66:67], v[160:161]
	v_fma_f64 v[40:41], v[52:53], v[154:155], -v[40:41]
	s_waitcnt vmcnt(0)
	v_lshrrev_b16_e32 v52, 3, v172
	v_and_b32_e32 v52, 31, v52
	v_mul_lo_u16_e32 v52, 37, v52
	v_mul_lo_u16_sdwa v52, v52, v144 dst_sel:DWORD dst_unused:UNUSED_PAD src0_sel:BYTE_1 src1_sel:DWORD
	v_sub_u16_e32 v52, v172, v52
	v_and_b32_e32 v154, 0xff, v52
	v_mul_u32_u24_e32 v52, 6, v154
	v_lshlrev_b32_e32 v145, 4, v52
	v_fma_f64 v[66:67], v[163:164], v[158:159], -v[66:67]
	global_load_dwordx4 v[155:158], v145, s[8:9] offset:880
	global_load_dwordx4 v[159:162], v145, s[8:9] offset:864
	;; [unrolled: 1-line block ×4, first 2 shown]
	s_waitcnt vmcnt(0) lgkmcnt(4)
	v_mul_f64 v[52:53], v[36:37], v[169:170]
	v_fma_f64 v[52:53], v[24:25], v[167:168], v[52:53]
	v_mul_f64 v[24:25], v[24:25], v[169:170]
	v_fma_f64 v[134:135], v[36:37], v[167:168], -v[24:25]
	v_mul_f64 v[24:25], v[62:63], v[165:166]
	v_mul_f64 v[36:37], v[50:51], v[165:166]
	v_fma_f64 v[24:25], v[50:51], v[163:164], v[24:25]
	v_fma_f64 v[50:51], v[62:63], v[163:164], -v[36:37]
	s_waitcnt lgkmcnt(3)
	v_mul_f64 v[36:37], v[32:33], v[161:162]
	v_fma_f64 v[36:37], v[20:21], v[159:160], v[36:37]
	v_mul_f64 v[20:21], v[20:21], v[161:162]
	v_fma_f64 v[20:21], v[32:33], v[159:160], -v[20:21]
	v_mul_f64 v[32:33], v[58:59], v[157:158]
	v_fma_f64 v[32:33], v[46:47], v[155:156], v[32:33]
	v_mul_f64 v[46:47], v[46:47], v[157:158]
	v_fma_f64 v[46:47], v[58:59], v[155:156], -v[46:47]
	global_load_dwordx4 v[155:158], v145, s[8:9] offset:912
	global_load_dwordx4 v[159:162], v145, s[8:9] offset:896
	buffer_load_dword v174, off, s[36:39], 0 offset:60 ; 4-byte Folded Reload
	s_waitcnt vmcnt(1) lgkmcnt(2)
	v_mul_f64 v[58:59], v[0:1], v[161:162]
	v_fma_f64 v[58:59], v[8:9], v[159:160], v[58:59]
	v_mul_f64 v[8:9], v[8:9], v[161:162]
	v_fma_f64 v[0:1], v[0:1], v[159:160], -v[8:9]
	v_mul_f64 v[8:9], v[54:55], v[157:158]
	v_fma_f64 v[8:9], v[42:43], v[155:156], v[8:9]
	v_mul_f64 v[42:43], v[42:43], v[157:158]
	v_fma_f64 v[42:43], v[54:55], v[155:156], -v[42:43]
	s_waitcnt vmcnt(0)
	v_lshrrev_b16_e32 v54, 3, v174
	v_mul_u32_u24_e32 v54, 0x2493, v54
	v_mul_lo_u16_sdwa v54, v54, v144 dst_sel:DWORD dst_unused:UNUSED_PAD src0_sel:WORD_1 src1_sel:DWORD
	v_sub_u16_e32 v155, v174, v54
	v_mul_u32_u24_e32 v54, 6, v155
	v_lshlrev_b32_e32 v62, 4, v54
	global_load_dwordx4 v[156:159], v62, s[8:9] offset:880
	global_load_dwordx4 v[160:163], v62, s[8:9] offset:864
	;; [unrolled: 1-line block ×4, first 2 shown]
	s_waitcnt vmcnt(0)
	v_mul_f64 v[54:55], v[38:39], v[170:171]
	v_fma_f64 v[54:55], v[26:27], v[168:169], v[54:55]
	v_mul_f64 v[26:27], v[26:27], v[170:171]
	v_add_u32_e32 v170, 0x400, v223
	v_fma_f64 v[38:39], v[38:39], v[168:169], -v[26:27]
	v_mul_f64 v[26:27], v[28:29], v[166:167]
	v_fma_f64 v[26:27], v[16:17], v[164:165], v[26:27]
	v_mul_f64 v[16:17], v[16:17], v[166:167]
	v_fma_f64 v[28:29], v[28:29], v[164:165], -v[16:17]
	v_mul_f64 v[16:17], v[34:35], v[162:163]
	v_fma_f64 v[16:17], v[22:23], v[160:161], v[16:17]
	v_mul_f64 v[22:23], v[22:23], v[162:163]
	;; [unrolled: 4-line block ×3, first 2 shown]
	v_fma_f64 v[4:5], v[4:5], v[156:157], -v[12:13]
	global_load_dwordx4 v[156:159], v62, s[8:9] offset:912
	global_load_dwordx4 v[160:163], v62, s[8:9] offset:896
	v_add_f64 v[62:63], v[124:125], v[142:143]
	s_waitcnt lgkmcnt(0)
	; wave barrier
	s_waitcnt vmcnt(0) lgkmcnt(0)
	v_mul_f64 v[12:13], v[2:3], v[162:163]
	v_fma_f64 v[12:13], v[10:11], v[160:161], v[12:13]
	v_mul_f64 v[10:11], v[10:11], v[162:163]
	v_fma_f64 v[10:11], v[2:3], v[160:161], -v[10:11]
	v_mul_f64 v[2:3], v[110:111], v[158:159]
	v_fma_f64 v[144:145], v[108:109], v[156:157], v[2:3]
	v_mul_f64 v[2:3], v[108:109], v[158:159]
	v_add_f64 v[108:109], v[118:119], -v[140:141]
	v_fma_f64 v[110:111], v[110:111], v[156:157], -v[2:3]
	v_add_f64 v[2:3], v[118:119], v[140:141]
	v_add_f64 v[118:119], v[124:125], -v[142:143]
	v_add_f64 v[124:125], v[120:121], v[136:137]
	v_add_f64 v[140:141], v[126:127], v[138:139]
	v_add_f64 v[120:121], v[120:121], -v[136:137]
	v_add_f64 v[126:127], v[126:127], -v[138:139]
	v_add_f64 v[136:137], v[122:123], v[130:131]
	v_add_f64 v[138:139], v[128:129], v[132:133]
	v_add_f64 v[122:123], v[130:131], -v[122:123]
	;; [unrolled: 4-line block ×3, first 2 shown]
	v_add_f64 v[156:157], v[140:141], -v[62:63]
	v_add_f64 v[158:159], v[2:3], -v[136:137]
	;; [unrolled: 1-line block ×5, first 2 shown]
	v_add_f64 v[2:3], v[122:123], v[120:121]
	v_add_f64 v[62:63], v[128:129], v[126:127]
	v_add_f64 v[162:163], v[122:123], -v[120:121]
	v_add_f64 v[164:165], v[128:129], -v[126:127]
	;; [unrolled: 1-line block ×3, first 2 shown]
	v_add_f64 v[130:131], v[136:137], v[130:131]
	v_add_f64 v[132:133], v[138:139], v[132:133]
	v_add_f64 v[122:123], v[108:109], -v[122:123]
	v_add_f64 v[128:129], v[118:119], -v[128:129]
	;; [unrolled: 1-line block ×3, first 2 shown]
	v_add_f64 v[108:109], v[2:3], v[108:109]
	v_add_f64 v[118:119], v[62:63], v[118:119]
	v_mul_f64 v[136:137], v[124:125], s[0:1]
	v_add_f64 v[2:3], v[104:105], v[130:131]
	v_add_f64 v[62:63], v[106:107], v[132:133]
	v_mul_f64 v[104:105], v[158:159], s[2:3]
	v_mul_f64 v[106:107], v[160:161], s[2:3]
	;; [unrolled: 1-line block ×7, first 2 shown]
	v_fma_f64 v[130:131], v[130:131], s[10:11], v[2:3]
	v_fma_f64 v[132:133], v[132:133], s[10:11], v[62:63]
	;; [unrolled: 1-line block ×4, first 2 shown]
	v_fma_f64 v[136:137], v[142:143], s[18:19], -v[136:137]
	v_fma_f64 v[138:139], v[156:157], s[18:19], -v[138:139]
	;; [unrolled: 1-line block ×4, first 2 shown]
	v_fma_f64 v[142:143], v[122:123], s[22:23], v[158:159]
	v_fma_f64 v[156:157], v[128:129], s[22:23], v[160:161]
	v_fma_f64 v[120:121], v[120:121], s[4:5], -v[158:159]
	v_fma_f64 v[126:127], v[126:127], s[4:5], -v[160:161]
	v_fma_f64 v[128:129], v[128:129], s[24:25], -v[164:165]
	v_fma_f64 v[122:123], v[122:123], s[24:25], -v[162:163]
	v_add_f64 v[158:159], v[124:125], v[130:131]
	v_add_f64 v[140:141], v[140:141], v[132:133]
	v_add_f64 v[124:125], v[136:137], v[130:131]
	v_add_f64 v[136:137], v[138:139], v[132:133]
	v_add_f64 v[138:139], v[104:105], v[130:131]
	v_add_f64 v[160:161], v[106:107], v[132:133]
	v_fma_f64 v[142:143], v[108:109], s[16:17], v[142:143]
	v_fma_f64 v[132:133], v[108:109], s[16:17], v[120:121]
	;; [unrolled: 1-line block ×6, first 2 shown]
	v_add_f64 v[104:105], v[140:141], -v[142:143]
	v_add_f64 v[108:109], v[132:133], v[136:137]
	v_add_f64 v[122:123], v[124:125], -v[126:127]
	v_add_f64 v[120:121], v[128:129], v[138:139]
	v_add_f64 v[130:131], v[126:127], v[124:125]
	v_add_f64 v[124:125], v[136:137], -v[132:133]
	v_add_f64 v[132:133], v[138:139], -v[128:129]
	v_add_f64 v[128:129], v[142:143], v[140:141]
	v_add_f64 v[138:139], v[6:7], v[84:85]
	;; [unrolled: 1-line block ×3, first 2 shown]
	v_add_f64 v[6:7], v[6:7], -v[84:85]
	v_add_f64 v[30:31], v[30:31], -v[78:79]
	v_add_f64 v[78:79], v[14:15], v[82:83]
	v_add_f64 v[84:85], v[72:73], v[64:65]
	v_add_f64 v[14:15], v[14:15], -v[82:83]
	v_add_f64 v[64:65], v[72:73], -v[64:65]
	v_add_f64 v[72:73], v[18:19], v[76:77]
	v_add_f64 v[82:83], v[68:69], v[80:81]
	;; [unrolled: 4-line block ×3, first 2 shown]
	v_add_f64 v[118:119], v[156:157], v[158:159]
	v_add_f64 v[106:107], v[160:161], -v[162:163]
	v_add_f64 v[126:127], v[162:163], v[160:161]
	v_add_f64 v[136:137], v[158:159], -v[156:157]
	v_add_f64 v[142:143], v[78:79], -v[138:139]
	;; [unrolled: 1-line block ×7, first 2 shown]
	v_add_f64 v[158:159], v[18:19], v[14:15]
	v_add_f64 v[160:161], v[68:69], v[64:65]
	v_add_f64 v[162:163], v[18:19], -v[14:15]
	v_add_f64 v[164:165], v[68:69], -v[64:65]
	;; [unrolled: 1-line block ×4, first 2 shown]
	v_add_f64 v[72:73], v[72:73], v[76:77]
	v_add_f64 v[76:77], v[82:83], v[80:81]
	v_add_f64 v[18:19], v[6:7], -v[18:19]
	v_add_f64 v[68:69], v[30:31], -v[68:69]
	v_add_f64 v[6:7], v[158:159], v[6:7]
	v_add_f64 v[30:31], v[160:161], v[30:31]
	v_mul_f64 v[80:81], v[138:139], s[2:3]
	v_mul_f64 v[82:83], v[140:141], s[2:3]
	v_add_f64 v[100:101], v[100:101], v[72:73]
	v_add_f64 v[64:65], v[102:103], v[76:77]
	v_mul_f64 v[102:103], v[78:79], s[0:1]
	v_mul_f64 v[138:139], v[84:85], s[0:1]
	;; [unrolled: 1-line block ×6, first 2 shown]
	v_fma_f64 v[72:73], v[72:73], s[10:11], v[100:101]
	v_fma_f64 v[76:77], v[76:77], s[10:11], v[64:65]
	;; [unrolled: 1-line block ×4, first 2 shown]
	v_fma_f64 v[102:103], v[142:143], s[18:19], -v[102:103]
	v_fma_f64 v[138:139], v[156:157], s[18:19], -v[138:139]
	;; [unrolled: 1-line block ×4, first 2 shown]
	v_fma_f64 v[142:143], v[18:19], s[22:23], v[140:141]
	v_fma_f64 v[156:157], v[68:69], s[22:23], v[158:159]
	v_fma_f64 v[14:15], v[14:15], s[4:5], -v[140:141]
	v_fma_f64 v[140:141], v[166:167], s[4:5], -v[158:159]
	;; [unrolled: 1-line block ×4, first 2 shown]
	v_add_f64 v[158:159], v[78:79], v[72:73]
	v_add_f64 v[102:103], v[102:103], v[72:73]
	v_add_f64 v[138:139], v[138:139], v[76:77]
	v_add_f64 v[72:73], v[80:81], v[72:73]
	v_add_f64 v[160:161], v[82:83], v[76:77]
	v_fma_f64 v[142:143], v[6:7], s[16:17], v[142:143]
	v_fma_f64 v[14:15], v[6:7], s[16:17], v[14:15]
	;; [unrolled: 1-line block ×5, first 2 shown]
	v_add_f64 v[84:85], v[84:85], v[76:77]
	v_fma_f64 v[156:157], v[30:31], s[16:17], v[156:157]
	ds_write2_b64 v223, v[2:3], v[118:119] offset1:56
	ds_write2_b64 v223, v[120:121], v[122:123] offset0:112 offset1:168
	ds_write2_b64 v170, v[130:131], v[132:133] offset0:96 offset1:152
	;; [unrolled: 1-line block ×3, first 2 shown]
	v_add_f64 v[80:81], v[14:15], v[138:139]
	v_add_f64 v[140:141], v[102:103], -v[82:83]
	v_add_f64 v[102:103], v[82:83], v[102:103]
	v_add_f64 v[68:69], v[18:19], v[72:73]
	v_add_f64 v[82:83], v[138:139], -v[14:15]
	v_add_f64 v[14:15], v[72:73], -v[18:19]
	v_add_f64 v[18:19], v[86:87], v[116:117]
	v_add_f64 v[72:73], v[112:113], v[40:41]
	v_add_f64 v[86:87], v[86:87], -v[116:117]
	;; [unrolled: 4-line block ×4, first 2 shown]
	v_add_f64 v[44:45], v[44:45], -v[70:71]
	v_add_f64 v[70:71], v[112:113], v[18:19]
	v_add_f64 v[114:115], v[116:117], v[72:73]
	;; [unrolled: 1-line block ×3, first 2 shown]
	v_add_f64 v[76:77], v[84:85], -v[142:143]
	v_add_f64 v[78:79], v[160:161], -v[6:7]
	v_add_f64 v[138:139], v[6:7], v[160:161]
	v_add_f64 v[6:7], v[158:159], -v[156:157]
	v_add_f64 v[84:85], v[142:143], v[84:85]
	v_add_f64 v[142:143], v[112:113], -v[18:19]
	v_add_f64 v[156:157], v[116:117], -v[72:73]
	;; [unrolled: 1-line block ×6, first 2 shown]
	v_add_f64 v[158:159], v[48:49], v[56:57]
	v_add_f64 v[160:161], v[44:45], v[60:61]
	v_add_f64 v[162:163], v[48:49], -v[56:57]
	v_add_f64 v[164:165], v[44:45], -v[60:61]
	;; [unrolled: 1-line block ×4, first 2 shown]
	v_add_f64 v[66:67], v[66:67], v[70:71]
	v_add_f64 v[70:71], v[74:75], v[114:115]
	v_add_f64 v[48:49], v[86:87], -v[48:49]
	v_add_f64 v[44:45], v[40:41], -v[44:45]
	v_add_f64 v[74:75], v[158:159], v[86:87]
	v_add_f64 v[40:41], v[160:161], v[40:41]
	v_mul_f64 v[18:19], v[18:19], s[2:3]
	v_mul_f64 v[72:73], v[72:73], s[2:3]
	v_add_f64 v[86:87], v[96:97], v[66:67]
	v_add_f64 v[158:159], v[98:99], v[70:71]
	v_mul_f64 v[96:97], v[112:113], s[0:1]
	v_mul_f64 v[98:99], v[116:117], s[0:1]
	;; [unrolled: 1-line block ×6, first 2 shown]
	v_fma_f64 v[66:67], v[66:67], s[10:11], v[86:87]
	v_fma_f64 v[70:71], v[70:71], s[10:11], v[158:159]
	;; [unrolled: 1-line block ×4, first 2 shown]
	v_fma_f64 v[96:97], v[142:143], s[18:19], -v[96:97]
	v_fma_f64 v[98:99], v[156:157], s[18:19], -v[98:99]
	;; [unrolled: 1-line block ×4, first 2 shown]
	v_fma_f64 v[142:143], v[48:49], s[22:23], v[114:115]
	v_fma_f64 v[156:157], v[44:45], s[22:23], v[160:161]
	v_fma_f64 v[60:61], v[60:61], s[4:5], -v[160:161]
	v_fma_f64 v[48:49], v[48:49], s[24:25], -v[162:163]
	;; [unrolled: 1-line block ×4, first 2 shown]
	v_add_f64 v[112:113], v[112:113], v[66:67]
	v_add_f64 v[114:115], v[116:117], v[70:71]
	;; [unrolled: 1-line block ×6, first 2 shown]
	v_fma_f64 v[70:71], v[74:75], s[16:17], v[142:143]
	v_fma_f64 v[72:73], v[40:41], s[16:17], v[156:157]
	;; [unrolled: 1-line block ×6, first 2 shown]
	buffer_load_dword v137, off, s[36:39], 0 offset:100 ; 4-byte Folded Reload
	v_lshl_add_u32 v130, v155, 3, 0
	v_add_f64 v[116:117], v[114:115], -v[70:71]
	v_add_f64 v[44:45], v[72:73], v[112:113]
	v_add_f64 v[156:157], v[96:97], -v[60:61]
	v_add_f64 v[142:143], v[66:67], -v[48:49]
	v_add_f64 v[74:75], v[40:41], v[18:19]
	v_add_f64 v[18:19], v[18:19], -v[40:41]
	v_add_f64 v[66:67], v[48:49], v[66:67]
	v_add_f64 v[40:41], v[112:113], -v[72:73]
	v_add_f64 v[112:113], v[70:71], v[114:115]
	v_add_f64 v[48:49], v[52:53], v[8:9]
	v_add_f64 v[70:71], v[134:135], v[42:43]
	v_add_f64 v[8:9], v[52:53], -v[8:9]
	v_add_f64 v[52:53], v[24:25], v[58:59]
	v_add_f64 v[72:73], v[50:51], v[0:1]
	v_add_f64 v[42:43], v[134:135], -v[42:43]
	v_add_f64 v[24:25], v[24:25], -v[58:59]
	;; [unrolled: 1-line block ×3, first 2 shown]
	v_add_f64 v[50:51], v[36:37], v[32:33]
	v_add_f64 v[58:59], v[20:21], v[46:47]
	v_add_f64 v[32:33], v[32:33], -v[36:37]
	v_add_f64 v[20:21], v[46:47], -v[20:21]
	v_add_f64 v[36:37], v[52:53], v[48:49]
	v_add_f64 v[46:47], v[72:73], v[70:71]
	;; [unrolled: 1-line block ×4, first 2 shown]
	v_add_f64 v[56:57], v[98:99], -v[56:57]
	v_add_f64 v[96:97], v[52:53], -v[48:49]
	;; [unrolled: 1-line block ×7, first 2 shown]
	v_add_f64 v[114:115], v[32:33], v[24:25]
	v_add_f64 v[134:135], v[20:21], v[0:1]
	v_add_f64 v[162:163], v[32:33], -v[24:25]
	v_add_f64 v[164:165], v[20:21], -v[0:1]
	;; [unrolled: 1-line block ×4, first 2 shown]
	v_add_f64 v[36:37], v[50:51], v[36:37]
	v_add_f64 v[46:47], v[58:59], v[46:47]
	v_add_f64 v[32:33], v[8:9], -v[32:33]
	v_add_f64 v[20:21], v[42:43], -v[20:21]
	v_add_f64 v[8:9], v[114:115], v[8:9]
	v_add_f64 v[42:43], v[134:135], v[42:43]
	v_mul_f64 v[48:49], v[48:49], s[2:3]
	v_mul_f64 v[70:71], v[70:71], s[2:3]
	v_add_f64 v[50:51], v[92:93], v[36:37]
	v_add_f64 v[58:59], v[94:95], v[46:47]
	v_mul_f64 v[92:93], v[52:53], s[0:1]
	v_mul_f64 v[94:95], v[72:73], s[0:1]
	;; [unrolled: 1-line block ×6, first 2 shown]
	v_fma_f64 v[36:37], v[36:37], s[10:11], v[50:51]
	v_fma_f64 v[46:47], v[46:47], s[10:11], v[58:59]
	;; [unrolled: 1-line block ×4, first 2 shown]
	v_fma_f64 v[92:93], v[96:97], s[18:19], -v[92:93]
	v_fma_f64 v[94:95], v[98:99], s[18:19], -v[94:95]
	;; [unrolled: 1-line block ×4, first 2 shown]
	v_fma_f64 v[96:97], v[32:33], s[22:23], v[114:115]
	v_fma_f64 v[98:99], v[20:21], s[22:23], v[134:135]
	v_fma_f64 v[24:25], v[24:25], s[4:5], -v[114:115]
	v_fma_f64 v[0:1], v[0:1], s[4:5], -v[134:135]
	;; [unrolled: 1-line block ×4, first 2 shown]
	v_add_f64 v[52:53], v[52:53], v[36:37]
	v_add_f64 v[72:73], v[72:73], v[46:47]
	;; [unrolled: 1-line block ×6, first 2 shown]
	v_fma_f64 v[48:49], v[8:9], s[16:17], v[96:97]
	v_fma_f64 v[70:71], v[42:43], s[16:17], v[98:99]
	;; [unrolled: 1-line block ×6, first 2 shown]
	s_waitcnt vmcnt(0)
	ds_write_b64 v137, v[30:31]
	v_add_u32_e32 v131, 0x3000, v130
	v_add_f64 v[42:43], v[72:73], -v[48:49]
	v_add_f64 v[32:33], v[70:71], v[52:53]
	v_add_f64 v[162:163], v[24:25], v[94:95]
	v_add_f64 v[98:99], v[92:93], -v[0:1]
	v_add_f64 v[134:135], v[46:47], -v[8:9]
	v_add_f64 v[96:97], v[20:21], v[36:37]
	v_add_f64 v[0:1], v[0:1], v[92:93]
	v_add_f64 v[92:93], v[94:95], -v[24:25]
	v_add_f64 v[20:21], v[36:37], -v[20:21]
	v_add_f64 v[94:95], v[8:9], v[46:47]
	v_add_f64 v[8:9], v[52:53], -v[70:71]
	v_add_f64 v[52:53], v[48:49], v[72:73]
	v_add_f64 v[24:25], v[54:55], v[144:145]
	;; [unrolled: 1-line block ×3, first 2 shown]
	v_add_f64 v[46:47], v[54:55], -v[144:145]
	v_add_f64 v[48:49], v[26:27], v[12:13]
	v_add_f64 v[54:55], v[28:29], v[10:11]
	v_add_f64 v[38:39], v[38:39], -v[110:111]
	v_add_f64 v[12:13], v[26:27], -v[12:13]
	;; [unrolled: 1-line block ×3, first 2 shown]
	v_add_f64 v[26:27], v[16:17], v[34:35]
	v_add_f64 v[28:29], v[22:23], v[4:5]
	v_add_f64 v[16:17], v[34:35], -v[16:17]
	v_add_f64 v[4:5], v[4:5], -v[22:23]
	v_add_f64 v[22:23], v[48:49], v[24:25]
	v_add_f64 v[34:35], v[54:55], v[36:37]
	v_add_f64 v[70:71], v[48:49], -v[24:25]
	v_add_f64 v[72:73], v[54:55], -v[36:37]
	;; [unrolled: 1-line block ×6, first 2 shown]
	v_add_f64 v[110:111], v[16:17], v[12:13]
	v_add_f64 v[114:115], v[4:5], v[10:11]
	v_add_f64 v[164:165], v[4:5], -v[10:11]
	v_add_f64 v[10:11], v[10:11], -v[38:39]
	v_add_f64 v[22:23], v[26:27], v[22:23]
	v_add_f64 v[26:27], v[28:29], v[34:35]
	v_add_f64 v[144:145], v[16:17], -v[12:13]
	v_add_f64 v[16:17], v[46:47], -v[16:17]
	v_add_f64 v[4:5], v[38:39], -v[4:5]
	v_add_f64 v[12:13], v[12:13], -v[46:47]
	v_add_f64 v[28:29], v[110:111], v[46:47]
	v_add_f64 v[34:35], v[114:115], v[38:39]
	;; [unrolled: 1-line block ×4, first 2 shown]
	v_mul_f64 v[24:25], v[24:25], s[2:3]
	v_mul_f64 v[36:37], v[36:37], s[2:3]
	;; [unrolled: 1-line block ×8, first 2 shown]
	v_fma_f64 v[22:23], v[22:23], s[10:11], v[38:39]
	v_fma_f64 v[26:27], v[26:27], s[10:11], v[88:89]
	;; [unrolled: 1-line block ×4, first 2 shown]
	v_fma_f64 v[46:47], v[70:71], s[18:19], -v[46:47]
	v_fma_f64 v[90:91], v[72:73], s[18:19], -v[90:91]
	;; [unrolled: 1-line block ×4, first 2 shown]
	v_fma_f64 v[72:73], v[4:5], s[22:23], v[114:115]
	v_fma_f64 v[10:11], v[10:11], s[4:5], -v[114:115]
	v_fma_f64 v[4:5], v[4:5], s[24:25], -v[164:165]
	;; [unrolled: 1-line block ×3, first 2 shown]
	v_fma_f64 v[70:71], v[16:17], s[22:23], v[110:111]
	v_fma_f64 v[16:17], v[16:17], s[24:25], -v[144:145]
	v_add_f64 v[48:49], v[48:49], v[22:23]
	v_add_f64 v[46:47], v[46:47], v[22:23]
	;; [unrolled: 1-line block ×4, first 2 shown]
	v_fma_f64 v[36:37], v[34:35], s[16:17], v[72:73]
	v_fma_f64 v[10:11], v[34:35], s[16:17], v[10:11]
	;; [unrolled: 1-line block ×3, first 2 shown]
	v_add_f64 v[90:91], v[90:91], v[26:27]
	v_fma_f64 v[12:13], v[28:29], s[16:17], v[12:13]
	v_add_f64 v[54:55], v[54:55], v[26:27]
	v_fma_f64 v[26:27], v[28:29], s[16:17], v[70:71]
	v_fma_f64 v[16:17], v[28:29], s[16:17], v[16:17]
	v_add_f64 v[28:29], v[36:37], v[48:49]
	v_add_f64 v[70:71], v[46:47], -v[10:11]
	v_add_f64 v[34:35], v[4:5], v[22:23]
	v_add_f64 v[10:11], v[10:11], v[46:47]
	v_add_f64 v[4:5], v[22:23], -v[4:5]
	v_add_f64 v[166:167], v[12:13], v[90:91]
	v_add_f64 v[90:91], v[90:91], -v[12:13]
	v_add_f64 v[12:13], v[48:49], -v[36:37]
	v_add_u32_e32 v114, 0xc00, v223
	ds_write2_b64 v114, v[68:69], v[140:141] offset0:120 offset1:176
	ds_write2_b64 v146, v[102:103], v[14:15] offset0:104 offset1:160
	ds_write_b64 v223, v[6:7] offset:5824
	v_lshl_add_u32 v102, v153, 3, 0
	v_add_u32_e32 v103, 0x1800, v102
	ds_write2_b64 v103, v[86:87], v[44:45] offset0:16 offset1:72
	ds_write2_b64 v103, v[74:75], v[156:157] offset0:128 offset1:184
	v_add_u32_e32 v86, 0x1c00, v102
	ds_write2_b64 v86, v[60:61], v[18:19] offset0:112 offset1:168
	ds_write_b64 v102, v[40:41] offset:8960
	v_lshl_add_u32 v60, v154, 3, 0
	v_add_u32_e32 v61, 0x2000, v60
	v_add_u32_e32 v87, 0x2800, v60
	v_add_u32_e32 v132, 0x3800, v130
	ds_write2_b64 v61, v[50:51], v[32:33] offset0:152 offset1:208
	ds_write2_b64 v87, v[96:97], v[98:99] offset0:8 offset1:64
	;; [unrolled: 1-line block ×3, first 2 shown]
	ds_write_b64 v60, v[8:9] offset:12096
	ds_write2_b64 v131, v[38:39], v[28:29] offset0:32 offset1:88
	ds_write2_b64 v131, v[34:35], v[70:71] offset0:144 offset1:200
	ds_write2_b64 v132, v[10:11], v[4:5] offset1:56
	ds_write_b64 v130, v[12:13] offset:15232
	s_waitcnt lgkmcnt(0)
	; wave barrier
	s_waitcnt lgkmcnt(0)
	buffer_load_dword v133, off, s[36:39], 0 offset:92 ; 4-byte Folded Reload
	v_add_u32_e32 v40, 0x1400, v223
	v_add_u32_e32 v41, 0x2c00, v223
	;; [unrolled: 1-line block ×3, first 2 shown]
	v_add_f64 v[144:145], v[54:55], -v[26:27]
	v_add_f64 v[164:165], v[24:25], -v[16:17]
	v_add_f64 v[168:169], v[16:17], v[24:25]
	v_add_f64 v[54:55], v[26:27], v[54:55]
	ds_read2st64_b64 v[0:3], v223 offset1:7
	s_waitcnt vmcnt(0)
	ds_read_b64 v[118:119], v133
	ds_read2_b64 v[8:11], v40 offset0:88 offset1:144
	ds_read2_b64 v[12:15], v148 offset0:152 offset1:208
	;; [unrolled: 1-line block ×3, first 2 shown]
	ds_read_b64 v[120:121], v191
	ds_read2_b64 v[20:23], v150 offset0:72 offset1:128
	ds_read2_b64 v[16:19], v152 offset0:88 offset1:144
	ds_read_b64 v[122:123], v176
	ds_read2_b64 v[24:27], v114 offset0:120 offset1:176
	ds_read2_b64 v[28:31], v149 offset0:8 offset1:64
	;; [unrolled: 3-line block ×5, first 2 shown]
	buffer_load_dword v136, off, s[36:39], 0 offset:96 ; 4-byte Folded Reload
	s_waitcnt vmcnt(0)
	ds_read_b64 v[100:101], v136
	s_waitcnt lgkmcnt(0)
	; wave barrier
	s_waitcnt lgkmcnt(0)
	ds_write2_b64 v223, v[62:63], v[104:105] offset1:56
	ds_write2_b64 v223, v[106:107], v[108:109] offset0:112 offset1:168
	ds_write2_b64 v170, v[124:125], v[126:127] offset0:96 offset1:152
	;; [unrolled: 1-line block ×3, first 2 shown]
	ds_write_b64 v137, v[76:77]
	ds_write2_b64 v114, v[78:79], v[80:81] offset0:120 offset1:176
	ds_write2_b64 v146, v[82:83], v[138:139] offset0:104 offset1:160
	ds_write_b64 v223, v[84:85] offset:5824
	ds_write2_b64 v103, v[158:159], v[116:117] offset0:16 offset1:72
	ds_write2_b64 v103, v[142:143], v[160:161] offset0:128 offset1:184
	ds_write2_b64 v86, v[56:57], v[66:67] offset0:112 offset1:168
	ds_write_b64 v102, v[112:113] offset:8960
	ds_write2_b64 v61, v[58:59], v[42:43] offset0:152 offset1:208
	;; [unrolled: 4-line block ×3, first 2 shown]
	ds_write2_b64 v131, v[164:165], v[166:167] offset0:144 offset1:200
	ds_write2_b64 v132, v[90:91], v[168:169] offset1:56
	ds_write_b64 v130, v[54:55] offset:15232
	s_waitcnt lgkmcnt(0)
	; wave barrier
	s_waitcnt lgkmcnt(0)
	s_mov_b64 s[0:1], exec
	buffer_load_dword v42, off, s[36:39], 0 offset:64 ; 4-byte Folded Reload
	buffer_load_dword v43, off, s[36:39], 0 offset:68 ; 4-byte Folded Reload
	s_and_b64 s[0:1], s[0:1], vcc
	s_mov_b64 exec, s[0:1]
	s_cbranch_execz .LBB0_29
; %bb.28:
	s_waitcnt vmcnt(0)
	v_lshlrev_b32_e32 v124, 2, v43
	v_mov_b32_e32 v125, 0
	v_lshlrev_b64 v[52:53], 4, v[124:125]
	v_mov_b32_e32 v128, s9
	v_add_co_u32_e32 v43, vcc, s8, v52
	v_addc_co_u32_e32 v55, vcc, v128, v53, vcc
	v_add_co_u32_e32 v52, vcc, 0x1840, v43
	v_addc_co_u32_e32 v53, vcc, 0, v55, vcc
	v_lshlrev_b32_e32 v42, 2, v42
	v_add_co_u32_e32 v54, vcc, 0x1000, v43
	v_mov_b32_e32 v43, v125
	v_lshlrev_b64 v[42:43], 4, v[42:43]
	s_movk_i32 s9, 0x1840
	v_add_co_u32_e64 v64, s[0:1], s8, v42
	v_addc_co_u32_e64 v65, s[0:1], v128, v43, s[0:1]
	v_add_co_u32_e64 v42, s[0:1], s9, v64
	s_movk_i32 s16, 0x1000
	v_addc_co_u32_e64 v43, s[0:1], 0, v65, s[0:1]
	v_add_co_u32_e64 v64, s[0:1], s16, v64
	v_addc_co_u32_e64 v65, s[0:1], 0, v65, s[0:1]
	v_addc_co_u32_e32 v55, vcc, 0, v55, vcc
	global_load_dwordx4 v[56:59], v[52:53], off offset:32
	global_load_dwordx4 v[60:63], v[52:53], off offset:16
	;; [unrolled: 1-line block ×5, first 2 shown]
                                        ; kill: killed $vgpr64 killed $vgpr65
	global_load_dwordx4 v[88:91], v[42:43], off offset:16
	s_nop 0
	global_load_dwordx4 v[64:67], v[54:55], off offset:2112
	global_load_dwordx4 v[92:95], v[52:53], off offset:48
	v_add_u32_e32 v129, 0x2000, v223
	ds_read2_b64 v[52:55], v40 offset0:88 offset1:144
	ds_read2_b64 v[40:43], v41 offset0:104 offset1:160
	v_add_u32_e32 v106, 0x3800, v223
	ds_read_b64 v[112:113], v136
	ds_read_b64 v[107:108], v193
	;; [unrolled: 1-line block ×3, first 2 shown]
	ds_read2_b64 v[130:133], v129 offset0:40 offset1:96
	ds_read2_b64 v[134:137], v106 offset0:56 offset1:112
	v_add_u32_e32 v116, 0x1000, v223
	v_add_u32_e32 v109, 0x2800, v223
	ds_read2_b64 v[138:141], v116 offset0:104 offset1:160
	ds_read2_b64 v[142:145], v109 offset0:120 offset1:176
	s_mov_b32 s6, 0x134454ff
	s_mov_b32 s7, 0x3fee6f0e
	;; [unrolled: 1-line block ×8, first 2 shown]
	v_lshlrev_b32_e32 v105, 2, v174
	v_mov_b32_e32 v106, v125
	s_mov_b32 s0, 0x372fe950
	s_mov_b32 s1, 0x3fd3c6ef
	v_lshlrev_b32_e32 v104, 2, v172
	v_lshlrev_b32_e32 v102, 2, v190
	v_add_u32_e32 v190, 0x1800, v223
	v_lshlrev_b32_e32 v103, 2, v173
	v_lshlrev_b32_e32 v124, 2, v196
	s_waitcnt vmcnt(5)
	v_mul_f64 v[148:149], v[70:71], v[78:79]
	s_waitcnt vmcnt(4)
	v_mul_f64 v[150:151], v[32:33], v[82:83]
	v_mul_f64 v[146:147], v[4:5], v[58:59]
	;; [unrolled: 1-line block ×3, first 2 shown]
	s_waitcnt lgkmcnt(3)
	v_mul_f64 v[62:63], v[132:133], v[62:63]
	v_mul_f64 v[58:59], v[40:41], v[58:59]
	s_waitcnt vmcnt(1)
	v_mul_f64 v[156:157], v[8:9], v[66:67]
	s_waitcnt vmcnt(0)
	v_mul_f64 v[158:159], v[34:35], v[94:95]
	v_mul_f64 v[66:67], v[52:53], v[66:67]
	s_waitcnt lgkmcnt(2)
	v_mul_f64 v[94:95], v[136:137], v[94:95]
	v_fma_f64 v[40:41], v[56:57], v[40:41], -v[146:147]
	v_fma_f64 v[116:117], v[60:61], v[132:133], -v[116:117]
	v_fma_f64 v[60:61], v[46:47], v[60:61], v[62:63]
	v_fma_f64 v[4:5], v[4:5], v[56:57], v[58:59]
	v_fma_f64 v[46:47], v[64:65], v[52:53], -v[156:157]
	v_fma_f64 v[52:53], v[92:93], v[136:137], -v[158:159]
	v_fma_f64 v[8:9], v[8:9], v[64:65], v[66:67]
	v_fma_f64 v[64:65], v[34:35], v[92:93], v[94:95]
	v_fma_f64 v[160:161], v[80:81], v[134:135], -v[150:151]
	v_add_f64 v[56:57], v[116:117], v[40:41]
	v_add_f64 v[94:95], v[116:117], -v[40:41]
	v_add_f64 v[58:59], v[60:61], v[4:5]
	v_add_f64 v[150:151], v[46:47], v[112:113]
	;; [unrolled: 1-line block ×3, first 2 shown]
	v_add_f64 v[34:35], v[60:61], -v[4:5]
	v_add_f64 v[162:163], v[8:9], v[64:65]
	v_add_f64 v[62:63], v[116:117], -v[46:47]
	v_add_f64 v[66:67], v[40:41], -v[52:53]
	;; [unrolled: 1-line block ×5, first 2 shown]
	v_fma_f64 v[46:47], v[56:57], -0.5, v[112:113]
	v_fma_f64 v[92:93], v[92:93], -0.5, v[112:113]
	;; [unrolled: 1-line block ×3, first 2 shown]
	v_add_f64 v[58:59], v[116:117], v[150:151]
	v_fma_f64 v[116:117], v[162:163], -0.5, v[100:101]
	s_waitcnt lgkmcnt(0)
	v_mul_f64 v[154:155], v[144:145], v[86:87]
	v_add_f64 v[156:157], v[60:61], -v[8:9]
	v_add_f64 v[158:159], v[4:5], -v[64:65]
	v_mul_f64 v[152:153], v[130:131], v[90:91]
	v_fma_f64 v[146:147], v[76:77], v[140:141], -v[148:149]
	v_add_f64 v[148:149], v[52:53], -v[40:41]
	v_add_f64 v[150:151], v[62:63], v[66:67]
	v_fma_f64 v[62:63], v[132:133], s[10:11], v[46:47]
	v_fma_f64 v[46:47], v[132:133], s[6:7], v[46:47]
	;; [unrolled: 1-line block ×3, first 2 shown]
	v_add_f64 v[40:41], v[40:41], v[58:59]
	v_fma_f64 v[58:59], v[94:95], s[10:11], v[116:117]
	v_fma_f64 v[116:117], v[94:95], s[6:7], v[116:117]
	v_fma_f64 v[92:93], v[34:35], s[10:11], v[92:93]
	v_add_f64 v[156:157], v[156:157], v[158:159]
	v_mul_f64 v[86:87], v[74:75], v[86:87]
	v_fma_f64 v[158:159], v[74:75], v[84:85], v[154:155]
	v_mul_f64 v[74:75], v[140:141], v[78:79]
	v_mul_f64 v[78:79], v[134:135], v[82:83]
	v_add_f64 v[136:137], v[136:137], v[148:149]
	v_fma_f64 v[62:63], v[34:35], s[2:3], v[62:63]
	v_fma_f64 v[46:47], v[34:35], s[4:5], v[46:47]
	v_fma_f64 v[148:149], v[132:133], s[2:3], v[66:67]
	v_add_f64 v[66:67], v[52:53], v[40:41]
	v_fma_f64 v[52:53], v[164:165], s[2:3], v[116:117]
	v_mul_f64 v[90:91], v[44:45], v[90:91]
	v_fma_f64 v[116:117], v[44:45], v[88:89], v[152:153]
	v_add_f64 v[44:45], v[146:147], v[160:161]
	v_add_f64 v[56:57], v[8:9], -v[60:61]
	v_add_f64 v[112:113], v[64:65], -v[4:5]
	v_fma_f64 v[92:93], v[132:133], s[4:5], v[92:93]
	v_fma_f64 v[162:163], v[32:33], v[80:81], v[78:79]
	v_lshlrev_b64 v[32:33], 4, v[105:106]
	v_fma_f64 v[34:35], v[136:137], s[0:1], v[62:63]
	v_fma_f64 v[62:63], v[136:137], s[0:1], v[46:47]
	v_fma_f64 v[136:137], v[84:85], v[144:145], -v[86:87]
	v_fma_f64 v[144:145], v[44:45], -0.5, v[107:108]
	v_add_co_u32_e32 v44, vcc, s8, v32
	v_addc_co_u32_e32 v45, vcc, v128, v33, vcc
	v_add_co_u32_e32 v32, vcc, s9, v44
	v_addc_co_u32_e32 v33, vcc, 0, v45, vcc
	v_add_co_u32_e32 v44, vcc, s16, v44
	v_add_f64 v[8:9], v[100:101], v[8:9]
	v_fma_f64 v[100:101], v[88:89], v[130:131], -v[90:91]
	v_addc_co_u32_e32 v45, vcc, 0, v45, vcc
	v_fma_f64 v[40:41], v[164:165], s[4:5], v[58:59]
	v_fma_f64 v[58:59], v[150:151], s[0:1], v[92:93]
	v_add_f64 v[112:113], v[56:57], v[112:113]
	v_fma_f64 v[56:57], v[164:165], s[6:7], v[166:167]
	v_fma_f64 v[134:135], v[164:165], s[10:11], v[166:167]
	v_add_f64 v[140:141], v[116:117], -v[158:159]
	v_fma_f64 v[152:153], v[70:71], v[76:77], v[74:75]
	global_load_dwordx4 v[82:85], v[32:33], off offset:32
	global_load_dwordx4 v[86:89], v[32:33], off offset:16
	;; [unrolled: 1-line block ×4, first 2 shown]
	v_add_f64 v[8:9], v[60:61], v[8:9]
	v_add_f64 v[76:77], v[100:101], v[136:137]
	v_fma_f64 v[32:33], v[94:95], s[4:5], v[56:57]
	v_fma_f64 v[70:71], v[94:95], s[2:3], v[134:135]
	v_add_f64 v[74:75], v[100:101], -v[146:147]
	v_add_f64 v[78:79], v[136:137], -v[160:161]
	v_fma_f64 v[80:81], v[140:141], s[6:7], v[144:145]
	v_add_f64 v[94:95], v[152:153], -v[162:163]
	v_fma_f64 v[44:45], v[156:157], s[0:1], v[40:41]
	v_fma_f64 v[40:41], v[76:77], -0.5, v[107:108]
	v_add_f64 v[4:5], v[8:9], v[4:5]
	v_fma_f64 v[56:57], v[156:157], s[0:1], v[52:53]
	v_fma_f64 v[60:61], v[112:113], s[0:1], v[70:71]
	v_add_f64 v[8:9], v[74:75], v[78:79]
	v_fma_f64 v[70:71], v[140:141], s[10:11], v[144:145]
	v_fma_f64 v[52:53], v[94:95], s[2:3], v[80:81]
	v_add_f64 v[74:75], v[152:153], v[162:163]
	v_add_f64 v[78:79], v[146:147], -v[100:101]
	v_add_f64 v[80:81], v[160:161], -v[136:137]
	v_fma_f64 v[105:106], v[94:95], s[10:11], v[40:41]
	v_add_f64 v[64:65], v[4:5], v[64:65]
	v_add_f64 v[4:5], v[146:147], v[107:108]
	v_fma_f64 v[32:33], v[112:113], s[0:1], v[32:33]
	v_fma_f64 v[76:77], v[8:9], s[0:1], v[52:53]
	;; [unrolled: 1-line block ×3, first 2 shown]
	v_fma_f64 v[70:71], v[74:75], -0.5, v[96:97]
	v_add_f64 v[112:113], v[100:101], -v[136:137]
	v_add_f64 v[74:75], v[78:79], v[80:81]
	v_fma_f64 v[78:79], v[140:141], s[2:3], v[105:106]
	v_add_f64 v[4:5], v[100:101], v[4:5]
	v_add_f64 v[100:101], v[116:117], -v[152:153]
	v_add_f64 v[105:106], v[158:159], -v[162:163]
	;; [unrolled: 1-line block ×3, first 2 shown]
	v_fma_f64 v[94:95], v[94:95], s[6:7], v[40:41]
	v_fma_f64 v[107:108], v[112:113], s[10:11], v[70:71]
	;; [unrolled: 1-line block ×5, first 2 shown]
	v_add_f64 v[8:9], v[116:117], v[158:159]
	v_add_f64 v[78:79], v[100:101], v[105:106]
	v_mov_b32_e32 v105, v125
	v_fma_f64 v[52:53], v[140:141], s[4:5], v[94:95]
	v_add_f64 v[4:5], v[136:137], v[4:5]
	v_fma_f64 v[100:101], v[144:145], s[2:3], v[70:71]
	v_lshlrev_b64 v[70:71], 4, v[104:105]
	v_fma_f64 v[94:95], v[144:145], s[4:5], v[107:108]
	v_add_co_u32_e32 v104, vcc, s8, v70
	v_addc_co_u32_e32 v105, vcc, v128, v71, vcc
	v_add_co_u32_e32 v70, vcc, s9, v104
	v_addc_co_u32_e32 v71, vcc, 0, v105, vcc
	;; [unrolled: 2-line block ×3, first 2 shown]
	global_load_dwordx4 v[104:107], v[104:105], off offset:2112
	s_nop 0
	global_load_dwordx4 v[134:137], v[70:71], off offset:48
	v_fma_f64 v[8:9], v[8:9], -0.5, v[96:97]
	v_fma_f64 v[46:47], v[150:151], s[0:1], v[148:149]
	v_add_f64 v[140:141], v[152:153], -v[116:117]
	v_add_f64 v[154:155], v[162:163], -v[158:159]
	v_fma_f64 v[52:53], v[74:75], s[0:1], v[52:53]
	v_fma_f64 v[74:75], v[78:79], s[0:1], v[94:95]
	;; [unrolled: 1-line block ×5, first 2 shown]
	global_load_dwordx4 v[144:147], v[70:71], off offset:32
	global_load_dwordx4 v[148:151], v[70:71], off offset:16
	v_add_f64 v[70:71], v[160:161], v[4:5]
	v_add_f64 v[4:5], v[140:141], v[154:155]
	v_add_f64 v[140:141], v[96:97], v[152:153]
	ds_read2_b64 v[94:97], v190 offset0:184 offset1:240
	ds_read2_b64 v[152:155], v115 offset0:72 offset1:128
	v_fma_f64 v[100:101], v[112:113], s[4:5], v[156:157]
	v_fma_f64 v[8:9], v[112:113], s[2:3], v[8:9]
	s_waitcnt vmcnt(7)
	v_mul_f64 v[164:165], v[72:73], v[84:85]
	s_waitcnt vmcnt(6)
	v_mul_f64 v[112:113], v[50:51], v[88:89]
	;; [unrolled: 2-line block ×4, first 2 shown]
	v_add_f64 v[116:117], v[116:117], v[140:141]
	s_waitcnt lgkmcnt(1)
	v_mul_f64 v[88:89], v[96:97], v[88:89]
	v_mul_f64 v[84:85], v[142:143], v[84:85]
	;; [unrolled: 1-line block ×3, first 2 shown]
	v_fma_f64 v[142:143], v[82:83], v[142:143], -v[164:165]
	v_fma_f64 v[112:113], v[86:87], v[96:97], -v[112:113]
	;; [unrolled: 1-line block ×3, first 2 shown]
	s_waitcnt lgkmcnt(0)
	v_fma_f64 v[140:141], v[130:131], v[154:155], -v[160:161]
	v_mul_f64 v[132:133], v[154:155], v[132:133]
	v_fma_f64 v[86:87], v[50:51], v[86:87], v[88:89]
	v_fma_f64 v[72:73], v[72:73], v[82:83], v[84:85]
	;; [unrolled: 1-line block ×3, first 2 shown]
	ds_read_b64 v[88:89], v192
	ds_read_b64 v[156:157], v177
	v_add_f64 v[82:83], v[112:113], -v[96:97]
	v_add_f64 v[50:51], v[96:97], v[140:141]
	v_add_f64 v[84:85], v[142:143], -v[140:141]
	v_fma_f64 v[154:155], v[38:39], v[130:131], v[132:133]
	v_add_f64 v[92:93], v[112:113], v[142:143]
	v_add_f64 v[115:116], v[116:117], v[158:159]
	v_add_f64 v[130:131], v[86:87], -v[72:73]
	v_fma_f64 v[38:39], v[4:5], s[0:1], v[100:101]
	v_add_f64 v[160:161], v[96:97], -v[140:141]
	s_waitcnt lgkmcnt(1)
	v_fma_f64 v[132:133], v[50:51], -0.5, v[88:89]
	v_fma_f64 v[50:51], v[4:5], s[0:1], v[8:9]
	v_add_f64 v[4:5], v[90:91], -v[154:155]
	v_fma_f64 v[8:9], v[92:93], -0.5, v[88:89]
	v_add_f64 v[82:83], v[82:83], v[84:85]
	v_add_f64 v[84:85], v[96:97], v[88:89]
	;; [unrolled: 1-line block ×4, first 2 shown]
	v_fma_f64 v[88:89], v[130:131], s[6:7], v[132:133]
	v_fma_f64 v[92:93], v[130:131], s[10:11], v[132:133]
	v_add_f64 v[115:116], v[96:97], -v[112:113]
	v_add_f64 v[132:133], v[140:141], -v[142:143]
	v_fma_f64 v[138:139], v[4:5], s[10:11], v[8:9]
	v_fma_f64 v[8:9], v[4:5], s[6:7], v[8:9]
	v_add_f64 v[84:85], v[112:113], v[84:85]
	v_fma_f64 v[158:159], v[100:101], -0.5, v[98:99]
	v_fma_f64 v[88:89], v[4:5], s[2:3], v[88:89]
	v_fma_f64 v[4:5], v[4:5], s[4:5], v[92:93]
	v_add_f64 v[162:163], v[86:87], v[72:73]
	v_add_f64 v[100:101], v[115:116], v[132:133]
	v_fma_f64 v[115:116], v[130:131], s[2:3], v[138:139]
	v_fma_f64 v[8:9], v[130:131], s[4:5], v[8:9]
	v_add_f64 v[130:131], v[142:143], v[84:85]
	v_add_f64 v[132:133], v[86:87], -v[90:91]
	v_add_f64 v[138:139], v[72:73], -v[154:155]
	v_fma_f64 v[92:93], v[82:83], s[0:1], v[4:5]
	v_add_f64 v[112:113], v[112:113], -v[142:143]
	v_fma_f64 v[88:89], v[82:83], s[0:1], v[88:89]
	v_fma_f64 v[84:85], v[100:101], s[0:1], v[115:116]
	;; [unrolled: 1-line block ×3, first 2 shown]
	v_add_f64 v[100:101], v[140:141], v[130:131]
	v_fma_f64 v[82:83], v[162:163], -0.5, v[98:99]
	v_add_f64 v[4:5], v[132:133], v[138:139]
	s_waitcnt vmcnt(3)
	v_mul_f64 v[138:139], v[26:27], v[106:107]
	s_waitcnt vmcnt(2)
	v_mul_f64 v[140:141], v[36:37], v[136:137]
	ds_read2_b64 v[130:133], v109 offset0:8 offset1:64
	ds_read2_b64 v[114:117], v114 offset0:120 offset1:176
	v_fma_f64 v[142:143], v[112:113], s[10:11], v[158:159]
	ds_read_b64 v[174:175], v176
	v_fma_f64 v[108:109], v[112:113], s[6:7], v[158:159]
	v_fma_f64 v[170:171], v[160:161], s[6:7], v[82:83]
	s_waitcnt lgkmcnt(1)
	v_mul_f64 v[106:107], v[116:117], v[106:107]
	v_fma_f64 v[164:165], v[104:105], v[116:117], -v[138:139]
	v_fma_f64 v[166:167], v[134:135], v[152:153], -v[140:141]
	v_mul_f64 v[116:117], v[152:153], v[136:137]
	s_waitcnt vmcnt(1)
	v_mul_f64 v[162:163], v[132:133], v[146:147]
	v_mul_f64 v[140:141], v[30:31], v[146:147]
	v_fma_f64 v[8:9], v[160:161], s[4:5], v[142:143]
	s_waitcnt vmcnt(0)
	v_mul_f64 v[142:143], v[94:95], v[150:151]
	v_mul_f64 v[138:139], v[48:49], v[150:151]
	v_fma_f64 v[176:177], v[26:27], v[104:105], v[106:107]
	v_mov_b32_e32 v104, v125
	v_lshlrev_b64 v[26:27], 4, v[103:104]
	v_fma_f64 v[172:173], v[30:31], v[144:145], v[162:163]
	v_fma_f64 v[30:31], v[160:161], s[10:11], v[82:83]
	v_add_f64 v[82:83], v[164:165], v[166:167]
	v_fma_f64 v[48:49], v[48:49], v[148:149], v[142:143]
	v_fma_f64 v[148:149], v[148:149], v[94:95], -v[138:139]
	v_fma_f64 v[150:151], v[144:145], v[132:133], -v[140:141]
	v_fma_f64 v[36:37], v[36:37], v[134:135], v[116:117]
	v_add_f64 v[158:159], v[90:91], -v[86:87]
	v_add_f64 v[168:169], v[154:155], -v[72:73]
	v_add_f64 v[90:91], v[98:99], v[90:91]
	v_fma_f64 v[162:163], v[82:83], -0.5, v[156:157]
	v_add_co_u32_e32 v82, vcc, s8, v26
	v_addc_co_u32_e32 v83, vcc, v128, v27, vcc
	v_add_co_u32_e32 v26, vcc, s9, v82
	v_addc_co_u32_e32 v27, vcc, 0, v83, vcc
	;; [unrolled: 2-line block ×3, first 2 shown]
	global_load_dwordx4 v[132:135], v[26:27], off offset:32
	global_load_dwordx4 v[136:139], v[26:27], off offset:16
	global_load_dwordx4 v[140:143], v[82:83], off offset:2112
	global_load_dwordx4 v[144:147], v[26:27], off offset:48
	v_add_f64 v[152:153], v[48:49], -v[172:173]
	v_add_f64 v[82:83], v[86:87], v[90:91]
	v_add_f64 v[106:107], v[176:177], -v[36:37]
	v_fma_f64 v[94:95], v[160:161], s[2:3], v[108:109]
	v_add_f64 v[98:99], v[158:159], v[168:169]
	v_fma_f64 v[30:31], v[112:113], s[2:3], v[30:31]
	v_fma_f64 v[103:104], v[112:113], s[4:5], v[170:171]
	v_add_f64 v[26:27], v[148:149], -v[164:165]
	v_fma_f64 v[90:91], v[152:153], s[6:7], v[162:163]
	v_add_f64 v[86:87], v[150:151], -v[166:167]
	v_add_f64 v[108:109], v[148:149], v[150:151]
	v_add_f64 v[116:117], v[148:149], -v[150:151]
	v_add_f64 v[72:73], v[82:83], v[72:73]
	v_add_f64 v[184:185], v[176:177], -v[48:49]
	v_fma_f64 v[82:83], v[98:99], s[0:1], v[103:104]
	v_mov_b32_e32 v103, v125
	v_fma_f64 v[112:113], v[106:107], s[2:3], v[90:91]
	v_fma_f64 v[90:91], v[4:5], s[0:1], v[94:95]
	;; [unrolled: 1-line block ×3, first 2 shown]
	v_add_f64 v[30:31], v[164:165], v[156:157]
	v_add_f64 v[26:27], v[26:27], v[86:87]
	v_fma_f64 v[86:87], v[4:5], s[0:1], v[8:9]
	v_add_f64 v[4:5], v[176:177], v[36:37]
	v_fma_f64 v[8:9], v[108:109], -0.5, v[156:157]
	v_add_f64 v[108:109], v[164:165], -v[148:149]
	v_add_f64 v[156:157], v[172:173], -v[36:37]
	v_add_f64 v[98:99], v[72:73], v[154:155]
	v_add_f64 v[30:31], v[148:149], v[30:31]
	v_add_f64 v[148:149], v[48:49], -v[176:177]
	v_fma_f64 v[104:105], v[26:27], s[0:1], v[112:113]
	v_fma_f64 v[4:5], v[4:5], -0.5, v[110:111]
	v_add_f64 v[112:113], v[166:167], -v[150:151]
	v_fma_f64 v[72:73], v[152:153], s[10:11], v[162:163]
	v_fma_f64 v[154:155], v[106:107], s[10:11], v[8:9]
	v_fma_f64 v[8:9], v[106:107], s[6:7], v[8:9]
	v_add_f64 v[170:171], v[150:151], v[30:31]
	v_lshlrev_b64 v[30:31], 4, v[102:103]
	v_add_f64 v[178:179], v[148:149], v[156:157]
	v_add_co_u32_e32 v102, vcc, s8, v30
	v_addc_co_u32_e32 v103, vcc, v128, v31, vcc
	v_add_co_u32_e32 v30, vcc, s16, v102
	v_addc_co_u32_e32 v31, vcc, 0, v103, vcc
	global_load_dwordx4 v[148:151], v[30:31], off offset:2112
	v_add_f64 v[164:165], v[164:165], -v[166:167]
	v_fma_f64 v[158:159], v[116:117], s[10:11], v[4:5]
	v_fma_f64 v[72:73], v[106:107], s[4:5], v[72:73]
	v_add_f64 v[106:107], v[48:49], v[172:173]
	v_add_co_u32_e32 v30, vcc, s9, v102
	v_addc_co_u32_e32 v31, vcc, 0, v103, vcc
	v_fma_f64 v[168:169], v[152:153], s[2:3], v[154:155]
	v_fma_f64 v[8:9], v[152:153], s[4:5], v[8:9]
	v_fma_f64 v[180:181], v[164:165], s[4:5], v[158:159]
	v_fma_f64 v[4:5], v[116:117], s[6:7], v[4:5]
	global_load_dwordx4 v[152:155], v[30:31], off offset:48
	global_load_dwordx4 v[156:159], v[30:31], off offset:32
	;; [unrolled: 1-line block ×3, first 2 shown]
	v_add_f64 v[112:113], v[108:109], v[112:113]
	v_fma_f64 v[182:183], v[106:107], -0.5, v[110:111]
	v_fma_f64 v[108:109], v[26:27], s[0:1], v[72:73]
	v_add_f64 v[110:111], v[110:111], v[176:177]
	v_add_f64 v[186:187], v[36:37], -v[172:173]
	v_fma_f64 v[102:103], v[178:179], s[0:1], v[180:181]
	v_fma_f64 v[4:5], v[164:165], s[2:3], v[4:5]
	;; [unrolled: 1-line block ×5, first 2 shown]
	v_add_f64 v[112:113], v[166:167], v[170:171]
	v_fma_f64 v[72:73], v[164:165], s[10:11], v[182:183]
	ds_read2_b64 v[164:167], v190 offset0:72 offset1:128
	v_fma_f64 v[106:107], v[178:179], s[0:1], v[4:5]
	v_add_u32_e32 v168, 0x3000, v223
	s_waitcnt vmcnt(7)
	v_mul_f64 v[180:181], v[28:29], v[134:135]
	s_waitcnt vmcnt(6)
	v_mul_f64 v[176:177], v[22:23], v[138:139]
	;; [unrolled: 2-line block ×4, first 2 shown]
	s_waitcnt lgkmcnt(0)
	v_mul_f64 v[138:139], v[166:167], v[138:139]
	ds_read2_b64 v[168:171], v168 offset0:88 offset1:144
	v_add_f64 v[48:49], v[48:49], v[110:111]
	v_mul_f64 v[110:111], v[130:131], v[134:135]
	v_fma_f64 v[130:131], v[132:133], v[130:131], -v[180:181]
	v_fma_f64 v[134:135], v[136:137], v[166:167], -v[176:177]
	;; [unrolled: 1-line block ×3, first 2 shown]
	s_waitcnt lgkmcnt(0)
	v_fma_f64 v[176:177], v[144:145], v[170:171], -v[182:183]
	v_fma_f64 v[182:183], v[22:23], v[136:137], v[138:139]
	v_mul_f64 v[22:23], v[114:115], v[142:143]
	v_mul_f64 v[114:115], v[170:171], v[146:147]
	v_add_f64 v[4:5], v[184:185], v[186:187]
	v_fma_f64 v[8:9], v[116:117], s[4:5], v[188:189]
	v_fma_f64 v[184:185], v[28:29], v[132:133], v[110:111]
	;; [unrolled: 1-line block ×3, first 2 shown]
	v_add_f64 v[48:49], v[48:49], v[172:173]
	v_add_f64 v[72:73], v[166:167], v[176:177]
	v_fma_f64 v[186:187], v[24:25], v[140:141], v[22:23]
	v_fma_f64 v[188:189], v[18:19], v[144:145], v[114:115]
	v_add_f64 v[22:23], v[134:135], v[130:131]
	v_add_f64 v[116:117], v[134:135], -v[166:167]
	v_add_f64 v[132:133], v[130:131], -v[176:177]
	;; [unrolled: 1-line block ×3, first 2 shown]
	v_fma_f64 v[24:25], v[4:5], s[0:1], v[8:9]
	v_fma_f64 v[72:73], v[72:73], -0.5, v[174:175]
	v_fma_f64 v[28:29], v[4:5], s[0:1], v[28:29]
	v_add_f64 v[110:111], v[48:49], v[36:37]
	v_add_f64 v[4:5], v[186:187], v[188:189]
	v_add_f64 v[36:37], v[186:187], -v[188:189]
	v_fma_f64 v[22:23], v[22:23], -0.5, v[174:175]
	v_add_f64 v[8:9], v[116:117], v[132:133]
	v_add_f64 v[114:115], v[166:167], v[174:175]
	v_fma_f64 v[48:49], v[18:19], s[6:7], v[72:73]
	v_fma_f64 v[72:73], v[18:19], s[10:11], v[72:73]
	v_add_f64 v[116:117], v[166:167], -v[134:135]
	v_fma_f64 v[174:175], v[4:5], -0.5, v[122:123]
	v_add_f64 v[192:193], v[134:135], -v[130:131]
	v_add_f64 v[4:5], v[176:177], -v[130:131]
	v_fma_f64 v[132:133], v[36:37], s[10:11], v[22:23]
	v_fma_f64 v[22:23], v[36:37], s[6:7], v[22:23]
	v_add_f64 v[114:115], v[134:135], v[114:115]
	v_add_f64 v[134:135], v[182:183], -v[186:187]
	v_add_f64 v[136:137], v[184:185], -v[188:189]
	;; [unrolled: 1-line block ×3, first 2 shown]
	v_fma_f64 v[138:139], v[192:193], s[10:11], v[174:175]
	v_fma_f64 v[48:49], v[36:37], s[2:3], v[48:49]
	;; [unrolled: 1-line block ×3, first 2 shown]
	v_add_f64 v[72:73], v[116:117], v[4:5]
	v_fma_f64 v[4:5], v[18:19], s[2:3], v[132:133]
	v_fma_f64 v[22:23], v[18:19], s[4:5], v[22:23]
	v_add_f64 v[114:115], v[130:131], v[114:115]
	v_add_f64 v[194:195], v[134:135], v[136:137]
	v_fma_f64 v[136:137], v[166:167], s[4:5], v[138:139]
	s_waitcnt vmcnt(3)
	v_mul_f64 v[138:139], v[2:3], v[150:151]
	ds_read2st64_b64 v[130:133], v223 offset1:7
	ds_read_b64 v[190:191], v191
	v_fma_f64 v[4:5], v[72:73], s[0:1], v[4:5]
	v_fma_f64 v[22:23], v[72:73], s[0:1], v[22:23]
	v_lshlrev_b64 v[72:73], 4, v[124:125]
	v_fma_f64 v[116:117], v[8:9], s[0:1], v[48:49]
	v_add_co_u32_e32 v124, vcc, s8, v72
	v_addc_co_u32_e32 v125, vcc, v128, v73, vcc
	v_add_co_u32_e32 v72, vcc, s16, v124
	v_addc_co_u32_e32 v73, vcc, 0, v125, vcc
	global_load_dwordx4 v[140:143], v[72:73], off offset:2112
	v_add_co_u32_e32 v72, vcc, s9, v124
	v_addc_co_u32_e32 v73, vcc, 0, v125, vcc
	v_fma_f64 v[18:19], v[8:9], s[0:1], v[36:37]
	v_add_f64 v[134:135], v[176:177], v[114:115]
	v_fma_f64 v[114:115], v[194:195], s[0:1], v[136:137]
	s_waitcnt lgkmcnt(1)
	v_fma_f64 v[8:9], v[148:149], v[132:133], -v[138:139]
	ds_read2_b64 v[136:139], v129 offset0:152 offset1:208
	global_load_dwordx4 v[144:147], v[72:73], off offset:48
	global_load_dwordx4 v[170:173], v[72:73], off offset:32
	;; [unrolled: 1-line block ×3, first 2 shown]
	s_waitcnt vmcnt(6)
	v_mul_f64 v[36:37], v[16:17], v[154:155]
	s_waitcnt vmcnt(4)
	v_mul_f64 v[48:49], v[164:165], v[162:163]
	v_fma_f64 v[124:125], v[192:193], s[6:7], v[174:175]
	s_waitcnt lgkmcnt(0)
	v_mul_f64 v[72:73], v[138:139], v[158:159]
	v_add_f64 v[174:175], v[182:183], v[184:185]
	v_mul_f64 v[162:163], v[20:21], v[162:163]
	v_mul_f64 v[158:159], v[14:15], v[158:159]
	v_add_f64 v[128:129], v[186:187], -v[182:183]
	v_fma_f64 v[36:37], v[152:153], v[168:169], -v[36:37]
	v_fma_f64 v[48:49], v[20:21], v[160:161], v[48:49]
	v_mul_f64 v[20:21], v[132:133], v[150:151]
	v_fma_f64 v[72:73], v[14:15], v[156:157], v[72:73]
	v_mul_f64 v[132:133], v[168:169], v[154:155]
	v_fma_f64 v[150:151], v[174:175], -0.5, v[122:123]
	v_add_f64 v[122:123], v[122:123], v[186:187]
	v_fma_f64 v[154:155], v[160:161], v[164:165], -v[162:163]
	v_add_f64 v[14:15], v[8:9], v[36:37]
	v_fma_f64 v[138:139], v[156:157], v[138:139], -v[158:159]
	v_fma_f64 v[148:149], v[2:3], v[148:149], v[20:21]
	v_add_f64 v[156:157], v[48:49], -v[72:73]
	v_fma_f64 v[152:153], v[16:17], v[152:153], v[132:133]
	v_add_f64 v[2:3], v[188:189], -v[184:185]
	v_fma_f64 v[16:17], v[166:167], s[6:7], v[150:151]
	v_fma_f64 v[20:21], v[166:167], s[10:11], v[150:151]
	v_fma_f64 v[14:15], v[14:15], -0.5, v[190:191]
	v_add_f64 v[122:123], v[182:183], v[122:123]
	v_add_f64 v[132:133], v[154:155], -v[8:9]
	v_add_f64 v[150:151], v[138:139], -v[36:37]
	;; [unrolled: 1-line block ×3, first 2 shown]
	v_fma_f64 v[124:125], v[166:167], s[2:3], v[124:125]
	v_add_f64 v[128:129], v[128:129], v[2:3]
	v_fma_f64 v[2:3], v[192:193], s[4:5], v[16:17]
	v_fma_f64 v[158:159], v[156:157], s[6:7], v[14:15]
	;; [unrolled: 1-line block ×3, first 2 shown]
	v_add_f64 v[122:123], v[122:123], v[184:185]
	v_add_f64 v[150:151], v[132:133], v[150:151]
	;; [unrolled: 1-line block ×3, first 2 shown]
	v_fma_f64 v[16:17], v[194:195], s[0:1], v[124:125]
	v_fma_f64 v[14:15], v[156:157], s[10:11], v[14:15]
	;; [unrolled: 1-line block ×5, first 2 shown]
	v_add_f64 v[128:129], v[148:149], v[152:153]
	v_add_f64 v[132:133], v[122:123], v[188:189]
	v_fma_f64 v[122:123], v[162:163], -0.5, v[190:191]
	v_add_f64 v[162:163], v[8:9], -v[154:155]
	v_fma_f64 v[14:15], v[160:161], s[4:5], v[14:15]
	v_add_f64 v[164:165], v[36:37], -v[138:139]
	v_fma_f64 v[124:125], v[150:151], s[0:1], v[158:159]
	v_add_f64 v[158:159], v[8:9], v[190:191]
	v_fma_f64 v[128:129], v[128:129], -0.5, v[120:121]
	v_add_f64 v[166:167], v[154:155], -v[138:139]
	v_fma_f64 v[168:169], v[160:161], s[10:11], v[122:123]
	v_fma_f64 v[122:123], v[160:161], s[6:7], v[122:123]
	v_add_f64 v[160:161], v[48:49], v[72:73]
	v_add_f64 v[174:175], v[72:73], -v[152:153]
	v_add_f64 v[176:177], v[8:9], -v[36:37]
	v_add_f64 v[154:155], v[154:155], v[158:159]
	v_add_f64 v[158:159], v[48:49], -v[148:149]
	v_fma_f64 v[182:183], v[166:167], s[10:11], v[128:129]
	v_fma_f64 v[8:9], v[150:151], s[0:1], v[14:15]
	v_add_f64 v[150:151], v[162:163], v[164:165]
	v_fma_f64 v[14:15], v[156:157], s[2:3], v[168:169]
	v_fma_f64 v[122:123], v[156:157], s[4:5], v[122:123]
	v_fma_f64 v[156:157], v[160:161], -0.5, v[120:121]
	v_add_f64 v[138:139], v[138:139], v[154:155]
	v_fma_f64 v[160:161], v[166:167], s[6:7], v[128:129]
	v_add_f64 v[154:155], v[158:159], v[174:175]
	v_fma_f64 v[158:159], v[176:177], s[4:5], v[182:183]
	v_add_f64 v[162:163], v[148:149], -v[48:49]
	v_add_f64 v[164:165], v[152:153], -v[72:73]
	v_fma_f64 v[14:15], v[150:151], s[0:1], v[14:15]
	v_fma_f64 v[168:169], v[176:177], s[6:7], v[156:157]
	;; [unrolled: 1-line block ×3, first 2 shown]
	v_add_f64 v[138:139], v[36:37], v[138:139]
	s_waitcnt vmcnt(3)
	v_mul_f64 v[36:37], v[118:119], v[142:143]
	v_fma_f64 v[150:151], v[176:177], s[2:3], v[160:161]
	s_waitcnt vmcnt(2)
	v_mul_f64 v[160:161], v[6:7], v[146:147]
	v_fma_f64 v[122:123], v[154:155], s[0:1], v[158:159]
	v_add_f64 v[158:159], v[162:163], v[164:165]
	v_fma_f64 v[162:163], v[166:167], s[4:5], v[168:169]
	s_waitcnt vmcnt(0)
	v_mul_f64 v[164:165], v[10:11], v[180:181]
	v_mul_f64 v[168:169], v[12:13], v[172:173]
	v_fma_f64 v[36:37], v[140:141], v[126:127], -v[36:37]
	v_mul_f64 v[174:175], v[54:55], v[180:181]
	v_mul_f64 v[172:173], v[136:137], v[172:173]
	v_fma_f64 v[160:161], v[144:145], v[42:43], -v[160:161]
	v_add_f64 v[120:121], v[120:121], v[148:149]
	v_mul_f64 v[126:127], v[126:127], v[142:143]
	v_fma_f64 v[54:55], v[178:179], v[54:55], -v[164:165]
	v_mul_f64 v[42:43], v[42:43], v[146:147]
	v_fma_f64 v[148:149], v[170:171], v[136:137], -v[168:169]
	v_fma_f64 v[10:11], v[10:11], v[178:179], v[174:175]
	v_fma_f64 v[164:165], v[12:13], v[170:171], v[172:173]
	v_add_f64 v[12:13], v[36:37], v[160:161]
	v_add_f64 v[48:49], v[48:49], v[120:121]
	v_fma_f64 v[118:119], v[118:119], v[140:141], v[126:127]
	v_fma_f64 v[156:157], v[176:177], s[10:11], v[156:157]
	;; [unrolled: 1-line block ×3, first 2 shown]
	v_add_f64 v[120:121], v[54:55], v[148:149]
	v_add_f64 v[140:141], v[54:55], -v[36:37]
	v_add_f64 v[142:143], v[10:11], -v[164:165]
	v_fma_f64 v[144:145], v[12:13], -0.5, v[130:131]
	v_add_f64 v[146:147], v[148:149], -v[160:161]
	v_fma_f64 v[6:7], v[154:155], s[0:1], v[150:151]
	v_add_f64 v[48:49], v[48:49], v[72:73]
	v_add_f64 v[150:151], v[118:119], -v[42:43]
	v_fma_f64 v[120:121], v[120:121], -0.5, v[130:131]
	v_fma_f64 v[136:137], v[166:167], s[2:3], v[156:157]
	v_add_f64 v[154:155], v[160:161], -v[148:149]
	v_fma_f64 v[72:73], v[142:143], s[6:7], v[144:145]
	v_add_f64 v[140:141], v[140:141], v[146:147]
	v_fma_f64 v[144:145], v[142:143], s[10:11], v[144:145]
	v_add_f64 v[146:147], v[36:37], -v[54:55]
	v_add_f64 v[130:131], v[36:37], v[130:131]
	v_fma_f64 v[156:157], v[150:151], s[10:11], v[120:121]
	v_fma_f64 v[120:121], v[150:151], s[6:7], v[120:121]
	;; [unrolled: 1-line block ×4, first 2 shown]
	v_add_f64 v[136:137], v[48:49], v[152:153]
	v_fma_f64 v[48:49], v[150:151], s[4:5], v[144:145]
	v_add_f64 v[144:145], v[118:119], v[42:43]
	v_add_f64 v[150:151], v[146:147], v[154:155]
	v_fma_f64 v[146:147], v[142:143], s[2:3], v[156:157]
	v_fma_f64 v[152:153], v[142:143], s[4:5], v[120:121]
	v_add_f64 v[130:131], v[54:55], v[130:131]
	v_fma_f64 v[120:121], v[140:141], s[0:1], v[72:73]
	v_add_f64 v[72:73], v[10:11], v[164:165]
	v_fma_f64 v[142:143], v[140:141], s[0:1], v[48:49]
	v_fma_f64 v[48:49], v[144:145], -0.5, v[0:1]
	v_add_f64 v[54:55], v[54:55], -v[148:149]
	v_add_f64 v[36:37], v[36:37], -v[160:161]
	;; [unrolled: 1-line block ×3, first 2 shown]
	v_add_f64 v[130:131], v[148:149], v[130:131]
	v_add_f64 v[144:145], v[164:165], -v[42:43]
	v_fma_f64 v[72:73], v[72:73], -0.5, v[0:1]
	v_add_f64 v[0:1], v[0:1], v[118:119]
	v_fma_f64 v[146:147], v[150:151], s[0:1], v[146:147]
	v_fma_f64 v[148:149], v[54:55], s[10:11], v[48:49]
	;; [unrolled: 1-line block ×4, first 2 shown]
	v_add_f64 v[118:119], v[118:119], -v[10:11]
	v_add_f64 v[152:153], v[42:43], -v[164:165]
	v_fma_f64 v[156:157], v[36:37], s[6:7], v[72:73]
	v_add_f64 v[0:1], v[10:11], v[0:1]
	v_fma_f64 v[72:73], v[36:37], s[10:11], v[72:73]
	v_add_f64 v[154:155], v[160:161], v[130:131]
	v_add_f64 v[130:131], v[140:141], v[144:145]
	v_fma_f64 v[10:11], v[36:37], s[4:5], v[148:149]
	v_fma_f64 v[36:37], v[36:37], s[2:3], v[48:49]
	v_add_f64 v[48:49], v[118:119], v[152:153]
	v_fma_f64 v[144:145], v[54:55], s[4:5], v[156:157]
	v_add_f64 v[0:1], v[0:1], v[164:165]
	v_fma_f64 v[54:55], v[54:55], s[2:3], v[72:73]
	v_mad_u64_u32 v[72:73], s[2:3], s12, v196, 0
	v_fma_f64 v[118:119], v[130:131], s[0:1], v[10:11]
	v_fma_f64 v[12:13], v[158:159], s[0:1], v[162:163]
	v_mov_b32_e32 v10, v73
	v_fma_f64 v[140:141], v[130:131], s[0:1], v[36:37]
	v_add_f64 v[152:153], v[0:1], v[42:43]
	v_add_u32_e32 v42, 0x188, v196
	v_mad_u64_u32 v[10:11], s[2:3], s13, v196, v[10:11]
	v_fma_f64 v[144:145], v[48:49], s[0:1], v[144:145]
	v_fma_f64 v[148:149], v[48:49], s[0:1], v[54:55]
	v_mad_u64_u32 v[36:37], s[0:1], s12, v42, 0
	v_mov_b32_e32 v73, v10
	buffer_load_dword v10, off, s[36:39], 0 offset:44 ; 4-byte Folded Reload
	buffer_load_dword v11, off, s[36:39], 0 offset:48 ; 4-byte Folded Reload
	v_mad_u64_u32 v[42:43], s[0:1], s13, v42, v[37:38]
	buffer_load_dword v43, off, s[36:39], 0 offset:236 ; 4-byte Folded Reload
	v_mov_b32_e32 v1, s15
	v_mov_b32_e32 v37, v42
	v_add_u32_e32 v42, 0x498, v196
	s_waitcnt vmcnt(2)
	v_add_co_u32_e32 v0, vcc, s14, v10
	s_waitcnt vmcnt(1)
	v_addc_co_u32_e32 v1, vcc, v1, v11, vcc
	v_lshlrev_b64 v[10:11], 4, v[72:73]
	s_waitcnt vmcnt(0)
	v_mad_u64_u32 v[48:49], s[0:1], s12, v43, 0
	v_add_co_u32_e32 v10, vcc, v0, v10
	v_addc_co_u32_e32 v11, vcc, v1, v11, vcc
	global_store_dwordx4 v[10:11], v[152:155], off
	v_lshlrev_b64 v[10:11], 4, v[36:37]
	v_mov_b32_e32 v36, v49
	v_mad_u64_u32 v[36:37], s[0:1], s13, v43, v[36:37]
	v_add_co_u32_e32 v10, vcc, v0, v10
	v_mov_b32_e32 v49, v36
	v_mad_u64_u32 v[36:37], s[0:1], s12, v42, 0
	v_addc_co_u32_e32 v11, vcc, v1, v11, vcc
	v_mad_u64_u32 v[42:43], s[0:1], s13, v42, v[37:38]
	v_add_u32_e32 v43, 0x620, v196
	global_store_dwordx4 v[10:11], v[148:151], off
	v_mov_b32_e32 v37, v42
	buffer_load_dword v42, off, s[36:39], 0 offset:208 ; 4-byte Folded Reload
	v_lshlrev_b64 v[10:11], 4, v[48:49]
	v_mad_u64_u32 v[48:49], s[0:1], s12, v43, 0
	v_add_co_u32_e32 v10, vcc, v0, v10
	v_addc_co_u32_e32 v11, vcc, v1, v11, vcc
	global_store_dwordx4 v[10:11], v[140:143], off
	v_lshlrev_b64 v[10:11], 4, v[36:37]
	v_mov_b32_e32 v36, v49
	v_mad_u64_u32 v[36:37], s[0:1], s13, v43, v[36:37]
	v_add_co_u32_e32 v10, vcc, v0, v10
	v_mov_b32_e32 v49, v36
	v_addc_co_u32_e32 v11, vcc, v1, v11, vcc
	global_store_dwordx4 v[10:11], v[118:121], off
	v_lshlrev_b64 v[10:11], 4, v[48:49]
	s_mov_b32 s1, 0x5397829d
	v_add_co_u32_e32 v10, vcc, v0, v10
	v_addc_co_u32_e32 v11, vcc, v1, v11, vcc
	global_store_dwordx4 v[10:11], v[144:147], off
	s_movk_i32 s0, 0x620
	s_waitcnt vmcnt(3)
	v_mad_u64_u32 v[36:37], s[2:3], s12, v42, 0
	v_mad_u64_u32 v[42:43], s[2:3], s13, v42, v[37:38]
	v_or_b32_e32 v43, 0x1c0, v196
	v_mad_u64_u32 v[48:49], s[2:3], s12, v43, 0
	v_mov_b32_e32 v37, v42
	buffer_load_dword v42, off, s[36:39], 0 offset:232 ; 4-byte Folded Reload
	v_lshlrev_b64 v[10:11], 4, v[36:37]
	v_mov_b32_e32 v36, v49
	v_mad_u64_u32 v[36:37], s[2:3], s13, v43, v[36:37]
	v_add_co_u32_e32 v10, vcc, v0, v10
	v_mov_b32_e32 v49, v36
	v_addc_co_u32_e32 v11, vcc, v1, v11, vcc
	global_store_dwordx4 v[10:11], v[136:139], off
	v_lshlrev_b64 v[10:11], 4, v[48:49]
	v_add_co_u32_e32 v10, vcc, v0, v10
	v_addc_co_u32_e32 v11, vcc, v1, v11, vcc
	global_store_dwordx4 v[10:11], v[126:129], off
	s_waitcnt vmcnt(2)
	v_mad_u64_u32 v[36:37], s[2:3], s12, v42, 0
	v_mad_u64_u32 v[42:43], s[2:3], s13, v42, v[37:38]
	v_add_u32_e32 v43, 0x4d0, v196
	v_mad_u64_u32 v[48:49], s[2:3], s12, v43, 0
	v_mov_b32_e32 v37, v42
	v_lshlrev_b64 v[10:11], 4, v[36:37]
	v_mov_b32_e32 v36, v49
	v_add_co_u32_e32 v10, vcc, v0, v10
	v_addc_co_u32_e32 v11, vcc, v1, v11, vcc
	global_store_dwordx4 v[10:11], v[6:9], off
	v_add_u32_e32 v10, 0x658, v196
	v_mad_u64_u32 v[36:37], s[2:3], s13, v43, v[36:37]
	v_mad_u64_u32 v[8:9], s[2:3], s12, v10, 0
	v_mov_b32_e32 v49, v36
	v_add_u32_e32 v36, 0x70, v196
	v_mad_u64_u32 v[9:10], s[2:3], s13, v10, v[9:10]
	v_lshlrev_b64 v[6:7], 4, v[48:49]
	v_mad_u64_u32 v[10:11], s[2:3], s12, v36, 0
	v_add_co_u32_e32 v6, vcc, v0, v6
	v_addc_co_u32_e32 v7, vcc, v1, v7, vcc
	global_store_dwordx4 v[6:7], v[122:125], off
	v_lshlrev_b64 v[6:7], 4, v[8:9]
	v_mov_b32_e32 v8, v11
	v_mad_u64_u32 v[8:9], s[2:3], s13, v36, v[8:9]
	v_add_co_u32_e32 v6, vcc, v0, v6
	v_addc_co_u32_e32 v7, vcc, v1, v7, vcc
	v_mov_b32_e32 v11, v8
	global_store_dwordx4 v[6:7], v[12:15], off
	v_lshlrev_b64 v[6:7], 4, v[10:11]
	buffer_load_dword v10, off, s[36:39], 0 offset:220 ; 4-byte Folded Reload
	buffer_load_dword v12, off, s[36:39], 0 offset:228 ; 4-byte Folded Reload
	v_add_co_u32_e32 v6, vcc, v0, v6
	v_addc_co_u32_e32 v7, vcc, v1, v7, vcc
	global_store_dwordx4 v[6:7], v[132:135], off
	s_waitcnt vmcnt(2)
	v_mad_u64_u32 v[8:9], s[2:3], s12, v10, 0
	v_mad_u64_u32 v[9:10], s[2:3], s13, v10, v[9:10]
	s_waitcnt vmcnt(1)
	v_mad_u64_u32 v[10:11], s[2:3], s12, v12, 0
	v_lshlrev_b64 v[6:7], 4, v[8:9]
	v_mov_b32_e32 v8, v11
	v_mad_u64_u32 v[8:9], s[2:3], s13, v12, v[8:9]
	v_add_co_u32_e32 v6, vcc, v0, v6
	v_addc_co_u32_e32 v7, vcc, v1, v7, vcc
	v_mov_b32_e32 v11, v8
	global_store_dwordx4 v[6:7], v[20:23], off
	v_lshlrev_b64 v[6:7], 4, v[10:11]
	v_add_u32_e32 v10, 0x508, v196
	v_mad_u64_u32 v[8:9], s[2:3], s12, v10, 0
	v_add_u32_e32 v12, 0x690, v196
	v_add_co_u32_e32 v6, vcc, v0, v6
	v_mad_u64_u32 v[9:10], s[2:3], s13, v10, v[9:10]
	v_mad_u64_u32 v[10:11], s[2:3], s12, v12, 0
	v_addc_co_u32_e32 v7, vcc, v1, v7, vcc
	global_store_dwordx4 v[6:7], v[16:19], off
	v_lshlrev_b64 v[6:7], 4, v[8:9]
	v_mov_b32_e32 v8, v11
	v_mad_u64_u32 v[8:9], s[2:3], s13, v12, v[8:9]
	buffer_load_dword v12, off, s[36:39], 0 offset:216 ; 4-byte Folded Reload
	v_add_co_u32_e32 v6, vcc, v0, v6
	v_addc_co_u32_e32 v7, vcc, v1, v7, vcc
	v_mov_b32_e32 v11, v8
	global_store_dwordx4 v[6:7], v[114:117], off
	v_lshlrev_b64 v[6:7], 4, v[10:11]
	v_add_u32_e32 v10, 0xa8, v196
	v_add_co_u32_e32 v6, vcc, v0, v6
	v_addc_co_u32_e32 v7, vcc, v1, v7, vcc
	global_store_dwordx4 v[6:7], v[2:5], off
	buffer_load_dword v6, off, s[36:39], 0 offset:224 ; 4-byte Folded Reload
	v_mad_u64_u32 v[8:9], s[2:3], s12, v10, 0
	v_mad_u64_u32 v[9:10], s[2:3], s13, v10, v[9:10]
	v_lshlrev_b64 v[2:3], 4, v[8:9]
	v_or_b32_e32 v8, 0x540, v196
	v_add_co_u32_e32 v2, vcc, v0, v2
	v_addc_co_u32_e32 v3, vcc, v1, v3, vcc
	global_store_dwordx4 v[2:3], v[110:113], off
	s_waitcnt vmcnt(4)
	v_mad_u64_u32 v[10:11], s[2:3], s12, v12, 0
	v_mov_b32_e32 v4, v11
	v_mad_u64_u32 v[4:5], s[2:3], s13, v12, v[4:5]
	v_mov_b32_e32 v11, v4
	v_lshlrev_b64 v[2:3], 4, v[10:11]
	v_add_co_u32_e32 v2, vcc, v0, v2
	s_waitcnt vmcnt(1)
	v_mad_u64_u32 v[4:5], s[2:3], s12, v6, 0
	v_addc_co_u32_e32 v3, vcc, v1, v3, vcc
	v_mad_u64_u32 v[5:6], s[2:3], s13, v6, v[5:6]
	v_mad_u64_u32 v[6:7], s[2:3], s12, v8, 0
	global_store_dwordx4 v[2:3], v[28:31], off
	v_lshlrev_b64 v[2:3], 4, v[4:5]
	v_mov_b32_e32 v4, v7
	v_mad_u64_u32 v[4:5], s[2:3], s13, v8, v[4:5]
	v_add_co_u32_e32 v2, vcc, v0, v2
	v_addc_co_u32_e32 v3, vcc, v1, v3, vcc
	v_mov_b32_e32 v7, v4
	global_store_dwordx4 v[2:3], v[106:109], off
	v_lshlrev_b64 v[2:3], 4, v[6:7]
	v_add_u32_e32 v6, 0x6c8, v196
	v_mad_u64_u32 v[4:5], s[2:3], s12, v6, 0
	v_add_u32_e32 v7, 0xe0, v196
	v_mul_hi_u32 v8, v7, s1
	v_mad_u64_u32 v[5:6], s[2:3], s13, v6, v[5:6]
	v_add_co_u32_e32 v2, vcc, v0, v2
	v_lshrrev_b32_e32 v6, 7, v8
	v_mad_u32_u24 v8, v6, s0, v7
	v_mad_u64_u32 v[6:7], s[2:3], s12, v8, 0
	v_addc_co_u32_e32 v3, vcc, v1, v3, vcc
	global_store_dwordx4 v[2:3], v[102:105], off
	v_lshlrev_b64 v[2:3], 4, v[4:5]
	v_mov_b32_e32 v4, v7
	v_mad_u64_u32 v[4:5], s[2:3], s13, v8, v[4:5]
	v_add_co_u32_e32 v2, vcc, v0, v2
	v_addc_co_u32_e32 v3, vcc, v1, v3, vcc
	v_mov_b32_e32 v7, v4
	global_store_dwordx4 v[2:3], v[24:27], off
	v_lshlrev_b64 v[2:3], 4, v[6:7]
	v_add_u32_e32 v6, 0x188, v8
	v_mad_u64_u32 v[4:5], s[2:3], s12, v6, 0
	v_add_u32_e32 v9, 0x310, v8
	v_add_co_u32_e32 v2, vcc, v0, v2
	v_mad_u64_u32 v[5:6], s[2:3], s13, v6, v[5:6]
	v_mad_u64_u32 v[6:7], s[2:3], s12, v9, 0
	v_addc_co_u32_e32 v3, vcc, v1, v3, vcc
	global_store_dwordx4 v[2:3], v[98:101], off
	v_lshlrev_b64 v[2:3], 4, v[4:5]
	v_mov_b32_e32 v4, v7
	v_mad_u64_u32 v[4:5], s[2:3], s13, v9, v[4:5]
	v_add_co_u32_e32 v2, vcc, v0, v2
	v_addc_co_u32_e32 v3, vcc, v1, v3, vcc
	v_mov_b32_e32 v7, v4
	global_store_dwordx4 v[2:3], v[94:97], off
	v_lshlrev_b64 v[2:3], 4, v[6:7]
	v_add_u32_e32 v6, 0x498, v8
	v_mad_u64_u32 v[4:5], s[2:3], s12, v6, 0
	v_add_u32_e32 v8, 0x620, v8
	v_add_co_u32_e32 v2, vcc, v0, v2
	v_mad_u64_u32 v[5:6], s[2:3], s13, v6, v[5:6]
	v_mad_u64_u32 v[6:7], s[2:3], s12, v8, 0
	v_addc_co_u32_e32 v3, vcc, v1, v3, vcc
	global_store_dwordx4 v[2:3], v[90:93], off
	v_lshlrev_b64 v[2:3], 4, v[4:5]
	v_mov_b32_e32 v4, v7
	v_mad_u64_u32 v[4:5], s[2:3], s13, v8, v[4:5]
	buffer_load_dword v8, off, s[36:39], 0 offset:212 ; 4-byte Folded Reload
	v_add_co_u32_e32 v2, vcc, v0, v2
	v_addc_co_u32_e32 v3, vcc, v1, v3, vcc
	v_mov_b32_e32 v7, v4
	global_store_dwordx4 v[2:3], v[86:89], off
	v_lshlrev_b64 v[2:3], 4, v[6:7]
	v_add_u32_e32 v6, 0x118, v196
	v_mad_u64_u32 v[4:5], s[2:3], s12, v6, 0
	v_add_co_u32_e32 v2, vcc, v0, v2
	v_mad_u64_u32 v[5:6], s[2:3], s13, v6, v[5:6]
	v_addc_co_u32_e32 v3, vcc, v1, v3, vcc
	global_store_dwordx4 v[2:3], v[82:85], off
	v_lshlrev_b64 v[2:3], 4, v[4:5]
	v_add_co_u32_e32 v2, vcc, v0, v2
	v_addc_co_u32_e32 v3, vcc, v1, v3, vcc
	global_store_dwordx4 v[2:3], v[68:71], off
	s_waitcnt vmcnt(3)
	v_mad_u64_u32 v[6:7], s[2:3], s12, v8, 0
	v_mov_b32_e32 v4, v7
	v_mad_u64_u32 v[4:5], s[2:3], s13, v8, v[4:5]
	v_add_u32_e32 v8, 0x5b0, v196
	v_mov_b32_e32 v7, v4
	v_lshlrev_b64 v[2:3], 4, v[6:7]
	v_add_u32_e32 v6, 0x428, v196
	v_mad_u64_u32 v[4:5], s[2:3], s12, v6, 0
	v_add_co_u32_e32 v2, vcc, v0, v2
	v_mad_u64_u32 v[5:6], s[2:3], s13, v6, v[5:6]
	v_mad_u64_u32 v[6:7], s[2:3], s12, v8, 0
	v_addc_co_u32_e32 v3, vcc, v1, v3, vcc
	global_store_dwordx4 v[2:3], v[50:53], off
	v_lshlrev_b64 v[2:3], 4, v[4:5]
	v_mov_b32_e32 v4, v7
	v_mad_u64_u32 v[4:5], s[2:3], s13, v8, v[4:5]
	v_add_co_u32_e32 v2, vcc, v0, v2
	v_addc_co_u32_e32 v3, vcc, v1, v3, vcc
	v_mov_b32_e32 v7, v4
	global_store_dwordx4 v[2:3], v[78:81], off
	v_lshlrev_b64 v[2:3], 4, v[6:7]
	v_add_u32_e32 v6, 0x738, v196
	v_mad_u64_u32 v[4:5], s[2:3], s12, v6, 0
	v_add_u32_e32 v7, 0x150, v196
	v_mul_hi_u32 v8, v7, s1
	v_mad_u64_u32 v[5:6], s[2:3], s13, v6, v[5:6]
	v_add_co_u32_e32 v2, vcc, v0, v2
	v_lshrrev_b32_e32 v6, 7, v8
	v_mad_u32_u24 v8, v6, s0, v7
	v_mad_u64_u32 v[6:7], s[0:1], s12, v8, 0
	v_addc_co_u32_e32 v3, vcc, v1, v3, vcc
	global_store_dwordx4 v[2:3], v[74:77], off
	v_lshlrev_b64 v[2:3], 4, v[4:5]
	v_mov_b32_e32 v4, v7
	v_mad_u64_u32 v[4:5], s[0:1], s13, v8, v[4:5]
	v_add_co_u32_e32 v2, vcc, v0, v2
	v_addc_co_u32_e32 v3, vcc, v1, v3, vcc
	v_mov_b32_e32 v7, v4
	global_store_dwordx4 v[2:3], v[38:41], off
	v_lshlrev_b64 v[2:3], 4, v[6:7]
	v_add_u32_e32 v6, 0x188, v8
	v_mad_u64_u32 v[4:5], s[0:1], s12, v6, 0
	v_add_u32_e32 v9, 0x310, v8
	v_add_co_u32_e32 v2, vcc, v0, v2
	v_mad_u64_u32 v[5:6], s[0:1], s13, v6, v[5:6]
	v_mad_u64_u32 v[6:7], s[0:1], s12, v9, 0
	v_addc_co_u32_e32 v3, vcc, v1, v3, vcc
	global_store_dwordx4 v[2:3], v[64:67], off
	v_lshlrev_b64 v[2:3], 4, v[4:5]
	v_mov_b32_e32 v4, v7
	v_mad_u64_u32 v[4:5], s[0:1], s13, v9, v[4:5]
	v_add_co_u32_e32 v2, vcc, v0, v2
	v_addc_co_u32_e32 v3, vcc, v1, v3, vcc
	v_mov_b32_e32 v7, v4
	global_store_dwordx4 v[2:3], v[60:63], off
	v_lshlrev_b64 v[2:3], 4, v[6:7]
	v_add_u32_e32 v6, 0x498, v8
	v_mad_u64_u32 v[4:5], s[0:1], s12, v6, 0
	v_add_u32_e32 v8, 0x620, v8
	v_add_co_u32_e32 v2, vcc, v0, v2
	v_mad_u64_u32 v[5:6], s[0:1], s13, v6, v[5:6]
	v_mad_u64_u32 v[6:7], s[0:1], s12, v8, 0
	v_addc_co_u32_e32 v3, vcc, v1, v3, vcc
	global_store_dwordx4 v[2:3], v[56:59], off
	v_lshlrev_b64 v[2:3], 4, v[4:5]
	v_mov_b32_e32 v4, v7
	v_mad_u64_u32 v[4:5], s[0:1], s13, v8, v[4:5]
	v_add_co_u32_e32 v2, vcc, v0, v2
	v_addc_co_u32_e32 v3, vcc, v1, v3, vcc
	v_mov_b32_e32 v7, v4
	global_store_dwordx4 v[2:3], v[44:47], off
	v_lshlrev_b64 v[2:3], 4, v[6:7]
	v_add_co_u32_e32 v0, vcc, v0, v2
	v_addc_co_u32_e32 v1, vcc, v1, v3, vcc
	global_store_dwordx4 v[0:1], v[32:35], off
.LBB0_29:
	s_endpgm
	.section	.rodata,"a",@progbits
	.p2align	6, 0x0
	.amdhsa_kernel fft_rtc_back_len1960_factors_4_7_2_7_5_wgs_56_tpt_56_halfLds_dp_ip_CI_sbrr_dirReg
		.amdhsa_group_segment_fixed_size 0
		.amdhsa_private_segment_fixed_size 244
		.amdhsa_kernarg_size 88
		.amdhsa_user_sgpr_count 6
		.amdhsa_user_sgpr_private_segment_buffer 1
		.amdhsa_user_sgpr_dispatch_ptr 0
		.amdhsa_user_sgpr_queue_ptr 0
		.amdhsa_user_sgpr_kernarg_segment_ptr 1
		.amdhsa_user_sgpr_dispatch_id 0
		.amdhsa_user_sgpr_flat_scratch_init 0
		.amdhsa_user_sgpr_private_segment_size 0
		.amdhsa_uses_dynamic_stack 0
		.amdhsa_system_sgpr_private_segment_wavefront_offset 1
		.amdhsa_system_sgpr_workgroup_id_x 1
		.amdhsa_system_sgpr_workgroup_id_y 0
		.amdhsa_system_sgpr_workgroup_id_z 0
		.amdhsa_system_sgpr_workgroup_info 0
		.amdhsa_system_vgpr_workitem_id 0
		.amdhsa_next_free_vgpr 256
		.amdhsa_next_free_sgpr 40
		.amdhsa_reserve_vcc 1
		.amdhsa_reserve_flat_scratch 0
		.amdhsa_float_round_mode_32 0
		.amdhsa_float_round_mode_16_64 0
		.amdhsa_float_denorm_mode_32 3
		.amdhsa_float_denorm_mode_16_64 3
		.amdhsa_dx10_clamp 1
		.amdhsa_ieee_mode 1
		.amdhsa_fp16_overflow 0
		.amdhsa_exception_fp_ieee_invalid_op 0
		.amdhsa_exception_fp_denorm_src 0
		.amdhsa_exception_fp_ieee_div_zero 0
		.amdhsa_exception_fp_ieee_overflow 0
		.amdhsa_exception_fp_ieee_underflow 0
		.amdhsa_exception_fp_ieee_inexact 0
		.amdhsa_exception_int_div_zero 0
	.end_amdhsa_kernel
	.text
.Lfunc_end0:
	.size	fft_rtc_back_len1960_factors_4_7_2_7_5_wgs_56_tpt_56_halfLds_dp_ip_CI_sbrr_dirReg, .Lfunc_end0-fft_rtc_back_len1960_factors_4_7_2_7_5_wgs_56_tpt_56_halfLds_dp_ip_CI_sbrr_dirReg
                                        ; -- End function
	.section	.AMDGPU.csdata,"",@progbits
; Kernel info:
; codeLenInByte = 27764
; NumSgprs: 44
; NumVgprs: 256
; ScratchSize: 244
; MemoryBound: 1
; FloatMode: 240
; IeeeMode: 1
; LDSByteSize: 0 bytes/workgroup (compile time only)
; SGPRBlocks: 5
; VGPRBlocks: 63
; NumSGPRsForWavesPerEU: 44
; NumVGPRsForWavesPerEU: 256
; Occupancy: 1
; WaveLimiterHint : 1
; COMPUTE_PGM_RSRC2:SCRATCH_EN: 1
; COMPUTE_PGM_RSRC2:USER_SGPR: 6
; COMPUTE_PGM_RSRC2:TRAP_HANDLER: 0
; COMPUTE_PGM_RSRC2:TGID_X_EN: 1
; COMPUTE_PGM_RSRC2:TGID_Y_EN: 0
; COMPUTE_PGM_RSRC2:TGID_Z_EN: 0
; COMPUTE_PGM_RSRC2:TIDIG_COMP_CNT: 0
	.type	__hip_cuid_cea7acde2e30b111,@object ; @__hip_cuid_cea7acde2e30b111
	.section	.bss,"aw",@nobits
	.globl	__hip_cuid_cea7acde2e30b111
__hip_cuid_cea7acde2e30b111:
	.byte	0                               ; 0x0
	.size	__hip_cuid_cea7acde2e30b111, 1

	.ident	"AMD clang version 19.0.0git (https://github.com/RadeonOpenCompute/llvm-project roc-6.4.0 25133 c7fe45cf4b819c5991fe208aaa96edf142730f1d)"
	.section	".note.GNU-stack","",@progbits
	.addrsig
	.addrsig_sym __hip_cuid_cea7acde2e30b111
	.amdgpu_metadata
---
amdhsa.kernels:
  - .args:
      - .actual_access:  read_only
        .address_space:  global
        .offset:         0
        .size:           8
        .value_kind:     global_buffer
      - .offset:         8
        .size:           8
        .value_kind:     by_value
      - .actual_access:  read_only
        .address_space:  global
        .offset:         16
        .size:           8
        .value_kind:     global_buffer
      - .actual_access:  read_only
        .address_space:  global
        .offset:         24
        .size:           8
        .value_kind:     global_buffer
      - .offset:         32
        .size:           8
        .value_kind:     by_value
      - .actual_access:  read_only
        .address_space:  global
        .offset:         40
        .size:           8
        .value_kind:     global_buffer
      - .actual_access:  read_only
        .address_space:  global
        .offset:         48
        .size:           8
        .value_kind:     global_buffer
      - .offset:         56
        .size:           4
        .value_kind:     by_value
      - .actual_access:  read_only
        .address_space:  global
        .offset:         64
        .size:           8
        .value_kind:     global_buffer
      - .actual_access:  read_only
        .address_space:  global
        .offset:         72
        .size:           8
        .value_kind:     global_buffer
      - .address_space:  global
        .offset:         80
        .size:           8
        .value_kind:     global_buffer
    .group_segment_fixed_size: 0
    .kernarg_segment_align: 8
    .kernarg_segment_size: 88
    .language:       OpenCL C
    .language_version:
      - 2
      - 0
    .max_flat_workgroup_size: 56
    .name:           fft_rtc_back_len1960_factors_4_7_2_7_5_wgs_56_tpt_56_halfLds_dp_ip_CI_sbrr_dirReg
    .private_segment_fixed_size: 244
    .sgpr_count:     44
    .sgpr_spill_count: 0
    .symbol:         fft_rtc_back_len1960_factors_4_7_2_7_5_wgs_56_tpt_56_halfLds_dp_ip_CI_sbrr_dirReg.kd
    .uniform_work_group_size: 1
    .uses_dynamic_stack: false
    .vgpr_count:     256
    .vgpr_spill_count: 80
    .wavefront_size: 64
amdhsa.target:   amdgcn-amd-amdhsa--gfx906
amdhsa.version:
  - 1
  - 2
...

	.end_amdgpu_metadata
